;; amdgpu-corpus repo=ROCm/rocFFT kind=compiled arch=gfx1030 opt=O3
	.text
	.amdgcn_target "amdgcn-amd-amdhsa--gfx1030"
	.amdhsa_code_object_version 6
	.protected	fft_rtc_fwd_len2160_factors_10_6_6_6_wgs_60_tpt_60_halfLds_dp_op_CI_CI_unitstride_sbrr_dirReg ; -- Begin function fft_rtc_fwd_len2160_factors_10_6_6_6_wgs_60_tpt_60_halfLds_dp_op_CI_CI_unitstride_sbrr_dirReg
	.globl	fft_rtc_fwd_len2160_factors_10_6_6_6_wgs_60_tpt_60_halfLds_dp_op_CI_CI_unitstride_sbrr_dirReg
	.p2align	8
	.type	fft_rtc_fwd_len2160_factors_10_6_6_6_wgs_60_tpt_60_halfLds_dp_op_CI_CI_unitstride_sbrr_dirReg,@function
fft_rtc_fwd_len2160_factors_10_6_6_6_wgs_60_tpt_60_halfLds_dp_op_CI_CI_unitstride_sbrr_dirReg: ; @fft_rtc_fwd_len2160_factors_10_6_6_6_wgs_60_tpt_60_halfLds_dp_op_CI_CI_unitstride_sbrr_dirReg
; %bb.0:
	s_clause 0x2
	s_load_dwordx4 s[12:15], s[4:5], 0x0
	s_load_dwordx4 s[8:11], s[4:5], 0x58
	;; [unrolled: 1-line block ×3, first 2 shown]
	v_mul_u32_u24_e32 v2, 0x445, v0
	v_mov_b32_e32 v1, 0
	s_mov_b64 s[30:31], s[2:3]
	s_mov_b64 s[28:29], s[0:1]
	v_mov_b32_e32 v4, 0
	v_add_nc_u32_sdwa v6, s6, v2 dst_sel:DWORD dst_unused:UNUSED_PAD src0_sel:DWORD src1_sel:WORD_1
	v_mov_b32_e32 v7, v1
	v_mov_b32_e32 v5, 0
	s_add_u32 s28, s28, s7
	s_addc_u32 s29, s29, 0
	s_waitcnt lgkmcnt(0)
	v_cmp_lt_u64_e64 s0, s[14:15], 2
	s_and_b32 vcc_lo, exec_lo, s0
	s_cbranch_vccnz .LBB0_8
; %bb.1:
	s_load_dwordx2 s[0:1], s[4:5], 0x10
	v_mov_b32_e32 v4, 0
	v_mov_b32_e32 v5, 0
	s_add_u32 s2, s18, 8
	s_addc_u32 s3, s19, 0
	s_add_u32 s6, s16, 8
	s_addc_u32 s7, s17, 0
	v_mov_b32_e32 v181, v5
	v_mov_b32_e32 v180, v4
	s_mov_b64 s[22:23], 1
	s_waitcnt lgkmcnt(0)
	s_add_u32 s20, s0, 8
	s_addc_u32 s21, s1, 0
.LBB0_2:                                ; =>This Inner Loop Header: Depth=1
	s_load_dwordx2 s[24:25], s[20:21], 0x0
                                        ; implicit-def: $vgpr182_vgpr183
	s_mov_b32 s0, exec_lo
	s_waitcnt lgkmcnt(0)
	v_or_b32_e32 v2, s25, v7
	v_cmpx_ne_u64_e32 0, v[1:2]
	s_xor_b32 s1, exec_lo, s0
	s_cbranch_execz .LBB0_4
; %bb.3:                                ;   in Loop: Header=BB0_2 Depth=1
	v_cvt_f32_u32_e32 v2, s24
	v_cvt_f32_u32_e32 v3, s25
	s_sub_u32 s0, 0, s24
	s_subb_u32 s26, 0, s25
	v_fmac_f32_e32 v2, 0x4f800000, v3
	v_rcp_f32_e32 v2, v2
	v_mul_f32_e32 v2, 0x5f7ffffc, v2
	v_mul_f32_e32 v3, 0x2f800000, v2
	v_trunc_f32_e32 v3, v3
	v_fmac_f32_e32 v2, 0xcf800000, v3
	v_cvt_u32_f32_e32 v3, v3
	v_cvt_u32_f32_e32 v2, v2
	v_mul_lo_u32 v8, s0, v3
	v_mul_hi_u32 v9, s0, v2
	v_mul_lo_u32 v10, s26, v2
	v_add_nc_u32_e32 v8, v9, v8
	v_mul_lo_u32 v9, s0, v2
	v_add_nc_u32_e32 v8, v8, v10
	v_mul_hi_u32 v10, v2, v9
	v_mul_lo_u32 v11, v2, v8
	v_mul_hi_u32 v12, v2, v8
	v_mul_hi_u32 v13, v3, v9
	v_mul_lo_u32 v9, v3, v9
	v_mul_hi_u32 v14, v3, v8
	v_mul_lo_u32 v8, v3, v8
	v_add_co_u32 v10, vcc_lo, v10, v11
	v_add_co_ci_u32_e32 v11, vcc_lo, 0, v12, vcc_lo
	v_add_co_u32 v9, vcc_lo, v10, v9
	v_add_co_ci_u32_e32 v9, vcc_lo, v11, v13, vcc_lo
	v_add_co_ci_u32_e32 v10, vcc_lo, 0, v14, vcc_lo
	v_add_co_u32 v8, vcc_lo, v9, v8
	v_add_co_ci_u32_e32 v9, vcc_lo, 0, v10, vcc_lo
	v_add_co_u32 v2, vcc_lo, v2, v8
	v_add_co_ci_u32_e32 v3, vcc_lo, v3, v9, vcc_lo
	v_mul_hi_u32 v8, s0, v2
	v_mul_lo_u32 v10, s26, v2
	v_mul_lo_u32 v9, s0, v3
	v_add_nc_u32_e32 v8, v8, v9
	v_mul_lo_u32 v9, s0, v2
	v_add_nc_u32_e32 v8, v8, v10
	v_mul_hi_u32 v10, v2, v9
	v_mul_lo_u32 v11, v2, v8
	v_mul_hi_u32 v12, v2, v8
	v_mul_hi_u32 v13, v3, v9
	v_mul_lo_u32 v9, v3, v9
	v_mul_hi_u32 v14, v3, v8
	v_mul_lo_u32 v8, v3, v8
	v_add_co_u32 v10, vcc_lo, v10, v11
	v_add_co_ci_u32_e32 v11, vcc_lo, 0, v12, vcc_lo
	v_add_co_u32 v9, vcc_lo, v10, v9
	v_add_co_ci_u32_e32 v9, vcc_lo, v11, v13, vcc_lo
	v_add_co_ci_u32_e32 v10, vcc_lo, 0, v14, vcc_lo
	v_add_co_u32 v8, vcc_lo, v9, v8
	v_add_co_ci_u32_e32 v9, vcc_lo, 0, v10, vcc_lo
	v_add_co_u32 v8, vcc_lo, v2, v8
	v_add_co_ci_u32_e32 v10, vcc_lo, v3, v9, vcc_lo
	v_mul_hi_u32 v12, v6, v8
	v_mad_u64_u32 v[8:9], null, v7, v8, 0
	v_mad_u64_u32 v[2:3], null, v6, v10, 0
	;; [unrolled: 1-line block ×3, first 2 shown]
	v_add_co_u32 v2, vcc_lo, v12, v2
	v_add_co_ci_u32_e32 v3, vcc_lo, 0, v3, vcc_lo
	v_add_co_u32 v2, vcc_lo, v2, v8
	v_add_co_ci_u32_e32 v2, vcc_lo, v3, v9, vcc_lo
	v_add_co_ci_u32_e32 v3, vcc_lo, 0, v11, vcc_lo
	v_add_co_u32 v8, vcc_lo, v2, v10
	v_add_co_ci_u32_e32 v9, vcc_lo, 0, v3, vcc_lo
	v_mul_lo_u32 v10, s25, v8
	v_mad_u64_u32 v[2:3], null, s24, v8, 0
	v_mul_lo_u32 v11, s24, v9
	v_sub_co_u32 v2, vcc_lo, v6, v2
	v_add3_u32 v3, v3, v11, v10
	v_sub_nc_u32_e32 v10, v7, v3
	v_subrev_co_ci_u32_e64 v10, s0, s25, v10, vcc_lo
	v_add_co_u32 v11, s0, v8, 2
	v_add_co_ci_u32_e64 v12, s0, 0, v9, s0
	v_sub_co_u32 v13, s0, v2, s24
	v_sub_co_ci_u32_e32 v3, vcc_lo, v7, v3, vcc_lo
	v_subrev_co_ci_u32_e64 v10, s0, 0, v10, s0
	v_cmp_le_u32_e32 vcc_lo, s24, v13
	v_cmp_eq_u32_e64 s0, s25, v3
	v_cndmask_b32_e64 v13, 0, -1, vcc_lo
	v_cmp_le_u32_e32 vcc_lo, s25, v10
	v_cndmask_b32_e64 v14, 0, -1, vcc_lo
	v_cmp_le_u32_e32 vcc_lo, s24, v2
	;; [unrolled: 2-line block ×3, first 2 shown]
	v_cndmask_b32_e64 v15, 0, -1, vcc_lo
	v_cmp_eq_u32_e32 vcc_lo, s25, v10
	v_cndmask_b32_e64 v2, v15, v2, s0
	v_cndmask_b32_e32 v10, v14, v13, vcc_lo
	v_add_co_u32 v13, vcc_lo, v8, 1
	v_add_co_ci_u32_e32 v14, vcc_lo, 0, v9, vcc_lo
	v_cmp_ne_u32_e32 vcc_lo, 0, v10
	v_cndmask_b32_e32 v3, v14, v12, vcc_lo
	v_cndmask_b32_e32 v10, v13, v11, vcc_lo
	v_cmp_ne_u32_e32 vcc_lo, 0, v2
	v_cndmask_b32_e32 v183, v9, v3, vcc_lo
	v_cndmask_b32_e32 v182, v8, v10, vcc_lo
.LBB0_4:                                ;   in Loop: Header=BB0_2 Depth=1
	s_andn2_saveexec_b32 s0, s1
	s_cbranch_execz .LBB0_6
; %bb.5:                                ;   in Loop: Header=BB0_2 Depth=1
	v_cvt_f32_u32_e32 v2, s24
	s_sub_i32 s1, 0, s24
	v_mov_b32_e32 v183, v1
	v_rcp_iflag_f32_e32 v2, v2
	v_mul_f32_e32 v2, 0x4f7ffffe, v2
	v_cvt_u32_f32_e32 v2, v2
	v_mul_lo_u32 v3, s1, v2
	v_mul_hi_u32 v3, v2, v3
	v_add_nc_u32_e32 v2, v2, v3
	v_mul_hi_u32 v2, v6, v2
	v_mul_lo_u32 v3, v2, s24
	v_add_nc_u32_e32 v8, 1, v2
	v_sub_nc_u32_e32 v3, v6, v3
	v_subrev_nc_u32_e32 v9, s24, v3
	v_cmp_le_u32_e32 vcc_lo, s24, v3
	v_cndmask_b32_e32 v3, v3, v9, vcc_lo
	v_cndmask_b32_e32 v2, v2, v8, vcc_lo
	v_cmp_le_u32_e32 vcc_lo, s24, v3
	v_add_nc_u32_e32 v8, 1, v2
	v_cndmask_b32_e32 v182, v2, v8, vcc_lo
.LBB0_6:                                ;   in Loop: Header=BB0_2 Depth=1
	s_or_b32 exec_lo, exec_lo, s0
	v_mul_lo_u32 v8, v183, s24
	v_mul_lo_u32 v9, v182, s25
	s_load_dwordx2 s[0:1], s[6:7], 0x0
	v_mad_u64_u32 v[2:3], null, v182, s24, 0
	s_load_dwordx2 s[24:25], s[2:3], 0x0
	s_add_u32 s22, s22, 1
	s_addc_u32 s23, s23, 0
	s_add_u32 s2, s2, 8
	s_addc_u32 s3, s3, 0
	s_add_u32 s6, s6, 8
	v_add3_u32 v3, v3, v9, v8
	v_sub_co_u32 v2, vcc_lo, v6, v2
	s_addc_u32 s7, s7, 0
	s_add_u32 s20, s20, 8
	v_sub_co_ci_u32_e32 v3, vcc_lo, v7, v3, vcc_lo
	s_addc_u32 s21, s21, 0
	s_waitcnt lgkmcnt(0)
	v_mul_lo_u32 v6, s0, v3
	v_mul_lo_u32 v7, s1, v2
	v_mad_u64_u32 v[4:5], null, s0, v2, v[4:5]
	v_mul_lo_u32 v3, s24, v3
	v_mul_lo_u32 v8, s25, v2
	v_mad_u64_u32 v[180:181], null, s24, v2, v[180:181]
	v_cmp_ge_u64_e64 s0, s[22:23], s[14:15]
	v_add3_u32 v5, v7, v5, v6
	v_add3_u32 v181, v8, v181, v3
	s_and_b32 vcc_lo, exec_lo, s0
	s_cbranch_vccnz .LBB0_9
; %bb.7:                                ;   in Loop: Header=BB0_2 Depth=1
	v_mov_b32_e32 v6, v182
	v_mov_b32_e32 v7, v183
	s_branch .LBB0_2
.LBB0_8:
	v_mov_b32_e32 v181, v5
	v_mov_b32_e32 v183, v7
	;; [unrolled: 1-line block ×4, first 2 shown]
.LBB0_9:
	s_load_dwordx2 s[0:1], s[4:5], 0x28
	v_mul_hi_u32 v1, 0x4444445, v0
	s_lshl_b64 s[4:5], s[14:15], 3
                                        ; implicit-def: $vgpr212
	s_add_u32 s2, s18, s4
	s_addc_u32 s3, s19, s5
	s_waitcnt lgkmcnt(0)
	v_cmp_gt_u64_e32 vcc_lo, s[0:1], v[182:183]
	v_cmp_le_u64_e64 s0, s[0:1], v[182:183]
	s_and_saveexec_b32 s1, s0
	s_xor_b32 s0, exec_lo, s1
; %bb.10:
	v_mul_u32_u24_e32 v1, 60, v1
                                        ; implicit-def: $vgpr4_vgpr5
	v_sub_nc_u32_e32 v212, v0, v1
                                        ; implicit-def: $vgpr1
                                        ; implicit-def: $vgpr0
; %bb.11:
	s_or_saveexec_b32 s1, s0
	s_load_dwordx2 s[2:3], s[2:3], 0x0
                                        ; implicit-def: $vgpr34_vgpr35
                                        ; implicit-def: $vgpr26_vgpr27
                                        ; implicit-def: $vgpr14_vgpr15
                                        ; implicit-def: $vgpr10_vgpr11
                                        ; implicit-def: $vgpr38_vgpr39
                                        ; implicit-def: $vgpr22_vgpr23
                                        ; implicit-def: $vgpr18_vgpr19
                                        ; implicit-def: $vgpr30_vgpr31
                                        ; implicit-def: $vgpr6_vgpr7
                                        ; implicit-def: $vgpr2_vgpr3
                                        ; implicit-def: $vgpr62_vgpr63
                                        ; implicit-def: $vgpr66_vgpr67
                                        ; implicit-def: $vgpr58_vgpr59
                                        ; implicit-def: $vgpr86_vgpr87
                                        ; implicit-def: $vgpr98_vgpr99
                                        ; implicit-def: $vgpr54_vgpr55
                                        ; implicit-def: $vgpr126_vgpr127
                                        ; implicit-def: $vgpr130_vgpr131
                                        ; implicit-def: $vgpr78_vgpr79
                                        ; implicit-def: $vgpr110_vgpr111
                                        ; implicit-def: $vgpr42_vgpr43
                                        ; implicit-def: $vgpr74_vgpr75
                                        ; implicit-def: $vgpr82_vgpr83
                                        ; implicit-def: $vgpr106_vgpr107
                                        ; implicit-def: $vgpr118_vgpr119
                                        ; implicit-def: $vgpr70_vgpr71
                                        ; implicit-def: $vgpr102_vgpr103
                                        ; implicit-def: $vgpr150_vgpr151
                                        ; implicit-def: $vgpr142_vgpr143
                                        ; implicit-def: $vgpr46_vgpr47
                                        ; implicit-def: $vgpr50_vgpr51
                                        ; implicit-def: $vgpr94_vgpr95
                                        ; implicit-def: $vgpr114_vgpr115
                                        ; implicit-def: $vgpr122_vgpr123
                                        ; implicit-def: $vgpr138_vgpr139
                                        ; implicit-def: $vgpr146_vgpr147
                                        ; implicit-def: $vgpr134_vgpr135
                                        ; implicit-def: $vgpr158_vgpr159
                                        ; implicit-def: $vgpr154_vgpr155
                                        ; implicit-def: $vgpr90_vgpr91
	s_xor_b32 exec_lo, exec_lo, s1
	s_cbranch_execz .LBB0_15
; %bb.12:
	s_add_u32 s4, s16, s4
	s_addc_u32 s5, s17, s5
                                        ; implicit-def: $vgpr36_vgpr37
                                        ; implicit-def: $vgpr32_vgpr33
	s_load_dwordx2 s[4:5], s[4:5], 0x0
	s_waitcnt lgkmcnt(0)
	v_mul_lo_u32 v6, s5, v182
	v_mul_lo_u32 v7, s4, v183
	v_mad_u64_u32 v[2:3], null, s4, v182, 0
	s_mov_b32 s4, exec_lo
	v_add3_u32 v3, v3, v7, v6
	v_mul_u32_u24_e32 v6, 60, v1
	v_lshlrev_b64 v[1:2], 4, v[2:3]
	v_sub_nc_u32_e32 v212, v0, v6
	v_lshlrev_b64 v[3:4], 4, v[4:5]
	v_lshlrev_b32_e32 v24, 4, v212
	v_add_co_u32 v0, s0, s8, v1
	v_add_co_ci_u32_e64 v1, s0, s9, v2, s0
	v_or_b32_e32 v2, 0x6c00, v24
	v_add_co_u32 v25, s0, v0, v3
	v_add_co_ci_u32_e64 v28, s0, v1, v4, s0
	v_add_co_u32 v0, s0, v25, v24
	v_add_co_ci_u32_e64 v1, s0, 0, v28, s0
	;; [unrolled: 2-line block ×12, first 2 shown]
	s_clause 0x3
	global_load_dwordx4 v[88:91], v[0:1], off
	global_load_dwordx4 v[44:47], v[0:1], off offset:960
	global_load_dwordx4 v[132:135], v[8:9], off offset:128
	global_load_dwordx4 v[100:103], v[8:9], off offset:1088
	v_add_co_u32 v8, s0, 0x3800, v0
	v_add_co_ci_u32_e64 v9, s0, 0, v1, s0
	v_add_co_u32 v22, s0, 0x6000, v0
	v_or_b32_e32 v24, 0x3000, v24
	v_add_co_ci_u32_e64 v23, s0, 0, v1, s0
	v_add_co_u32 v26, s0, 0x6800, v0
	v_add_co_ci_u32_e64 v27, s0, 0, v1, s0
	s_clause 0x3
	global_load_dwordx4 v[48:51], v[16:17], off offset:384
	global_load_dwordx4 v[40:43], v[16:17], off offset:1344
	global_load_dwordx4 v[140:143], v[20:21], off offset:320
	global_load_dwordx4 v[76:79], v[20:21], off offset:1280
	v_add_co_u32 v16, s0, v25, v24
	v_add_co_ci_u32_e64 v17, s0, 0, v28, s0
	v_add_co_u32 v30, s0, 0x2000, v0
	v_add_co_ci_u32_e64 v31, s0, 0, v1, s0
	;; [unrolled: 2-line block ×4, first 2 shown]
	v_add_co_u32 v34, s0, 0x8000, v0
	s_clause 0x1
	global_load_dwordx4 v[68:71], v[8:9], off offset:448
	global_load_dwordx4 v[52:55], v[8:9], off offset:1408
	v_add_co_ci_u32_e64 v35, s0, 0, v1, s0
	s_clause 0x13
	global_load_dwordx4 v[80:83], v[22:23], off offset:576
	global_load_dwordx4 v[56:59], v[22:23], off offset:1536
	;; [unrolled: 1-line block ×4, first 2 shown]
	global_load_dwordx4 v[92:95], v[4:5], off
	global_load_dwordx4 v[112:115], v[10:11], off offset:1664
	global_load_dwordx4 v[144:147], v[18:19], off offset:1536
	;; [unrolled: 1-line block ×9, first 2 shown]
	global_load_dwordx4 v[124:127], v[16:17], off
	global_load_dwordx4 v[96:99], v[38:39], off offset:768
	global_load_dwordx4 v[104:107], v[12:13], off offset:1216
	;; [unrolled: 1-line block ×5, first 2 shown]
                                        ; implicit-def: $vgpr0_vgpr1
                                        ; implicit-def: $vgpr4_vgpr5
                                        ; implicit-def: $vgpr28_vgpr29
                                        ; implicit-def: $vgpr16_vgpr17
                                        ; implicit-def: $vgpr20_vgpr21
                                        ; implicit-def: $vgpr8_vgpr9
                                        ; implicit-def: $vgpr12_vgpr13
                                        ; implicit-def: $vgpr24_vgpr25
	v_cmpx_gt_u32_e32 36, v212
; %bb.13:
	s_clause 0x9
	global_load_dwordx4 v[0:3], v[2:3], off offset:832
	global_load_dwordx4 v[4:7], v[6:7], off offset:192
	;; [unrolled: 1-line block ×10, first 2 shown]
; %bb.14:
	s_or_b32 exec_lo, exec_lo, s4
.LBB0_15:
	s_or_b32 exec_lo, exec_lo, s1
	s_waitcnt vmcnt(12)
	v_add_f64 v[162:163], v[112:113], v[136:137]
	v_add_f64 v[160:161], v[48:49], v[132:133]
	;; [unrolled: 1-line block ×4, first 2 shown]
	v_add_f64 v[170:171], v[134:135], -v[50:51]
	v_add_f64 v[172:173], v[132:133], -v[136:137]
	;; [unrolled: 1-line block ×5, first 2 shown]
	s_mov_b32 s6, 0x134454ff
	s_mov_b32 s7, 0x3fee6f0e
	;; [unrolled: 1-line block ×4, first 2 shown]
	v_add_f64 v[168:169], v[138:139], -v[114:115]
	v_add_f64 v[176:177], v[132:133], -v[48:49]
	;; [unrolled: 1-line block ×7, first 2 shown]
	s_waitcnt vmcnt(11)
	v_add_f64 v[196:197], v[156:157], -v[144:145]
	s_waitcnt vmcnt(9)
	v_add_f64 v[198:199], v[92:93], -v[120:121]
	v_fma_f64 v[162:163], v[162:163], -0.5, v[152:153]
	v_fma_f64 v[160:161], v[160:161], -0.5, v[152:153]
	;; [unrolled: 1-line block ×4, first 2 shown]
	v_add_f64 v[200:201], v[144:145], -v[156:157]
	v_add_f64 v[202:203], v[120:121], -v[92:93]
	v_add_f64 v[172:173], v[174:175], v[172:173]
	s_mov_b32 s14, 0x4755a5e
	v_add_f64 v[174:175], v[184:185], v[178:179]
	s_mov_b32 s15, 0x3fe2cf23
	s_mov_b32 s9, 0xbfe2cf23
	;; [unrolled: 1-line block ×5, first 2 shown]
	v_add_f64 v[132:133], v[132:133], v[152:153]
	s_mov_b32 s18, 0x9b97f4a8
	v_add_f64 v[186:187], v[188:189], v[186:187]
	s_mov_b32 s19, 0x3fe9e377
	v_add_f64 v[188:189], v[192:193], v[190:191]
	v_add_f64 v[192:193], v[120:121], v[144:145]
	s_waitcnt vmcnt(3)
	v_add_f64 v[206:207], v[70:71], -v[106:107]
	v_add_f64 v[196:197], v[198:199], v[196:197]
	v_fma_f64 v[184:185], v[170:171], s[6:7], v[162:163]
	v_fma_f64 v[162:163], v[170:171], s[4:5], v[162:163]
	v_fma_f64 v[178:179], v[168:169], s[4:5], v[160:161]
	v_fma_f64 v[160:161], v[168:169], s[6:7], v[160:161]
	v_fma_f64 v[190:191], v[176:177], s[4:5], v[164:165]
	v_fma_f64 v[164:165], v[176:177], s[6:7], v[164:165]
	v_fma_f64 v[198:199], v[194:195], s[6:7], v[166:167]
	v_add_f64 v[200:201], v[202:203], v[200:201]
	v_add_f64 v[202:203], v[92:93], v[156:157]
	v_fma_f64 v[166:167], v[194:195], s[4:5], v[166:167]
	v_add_f64 v[210:211], v[102:103], -v[42:43]
	v_add_f64 v[215:216], v[118:119], -v[82:83]
	v_add_f64 v[221:222], v[42:43], v[102:103]
	v_add_f64 v[223:224], v[116:117], -v[80:81]
	v_add_f64 v[136:137], v[136:137], v[132:133]
	v_add_f64 v[227:228], v[82:83], -v[42:43]
	s_waitcnt vmcnt(0)
	v_add_f64 v[234:235], v[60:61], v[124:125]
	v_add_f64 v[236:237], v[98:99], -v[58:59]
	v_add_f64 v[240:241], v[56:57], -v[60:61]
	v_fma_f64 v[192:193], v[192:193], -0.5, v[88:89]
	v_add_f64 v[242:243], v[124:125], -v[60:61]
	v_add_f64 v[246:247], v[62:63], v[126:127]
	v_fma_f64 v[184:185], v[168:169], s[14:15], v[184:185]
	v_fma_f64 v[162:163], v[168:169], s[8:9], v[162:163]
	;; [unrolled: 1-line block ×4, first 2 shown]
	v_add_f64 v[170:171], v[156:157], v[88:89]
	v_fma_f64 v[168:169], v[194:195], s[8:9], v[190:191]
	v_fma_f64 v[164:165], v[194:195], s[14:15], v[164:165]
	;; [unrolled: 1-line block ×3, first 2 shown]
	v_fma_f64 v[198:199], v[202:203], -0.5, v[88:89]
	v_fma_f64 v[166:167], v[176:177], s[14:15], v[166:167]
	v_add_f64 v[176:177], v[146:147], -v[122:123]
	v_add_f64 v[190:191], v[158:159], -v[94:95]
	;; [unrolled: 1-line block ×3, first 2 shown]
	v_fma_f64 v[221:222], v[221:222], -0.5, v[142:143]
	v_add_f64 v[248:249], v[96:97], -v[56:57]
	v_add_f64 v[252:253], v[58:59], -v[62:63]
	v_fma_f64 v[234:235], v[234:235], -0.5, v[76:77]
	v_cmp_gt_u32_e64 s0, 36, v212
	v_fma_f64 v[246:247], v[246:247], -0.5, v[78:79]
	v_fma_f64 v[184:185], v[172:173], s[16:17], v[184:185]
	v_fma_f64 v[88:89], v[172:173], s[16:17], v[162:163]
	;; [unrolled: 1-line block ×4, first 2 shown]
	v_add_f64 v[170:171], v[144:145], v[170:171]
	v_add_f64 v[178:179], v[112:113], v[136:137]
	v_fma_f64 v[136:137], v[186:187], s[16:17], v[168:169]
	v_fma_f64 v[112:113], v[188:189], s[16:17], v[194:195]
	;; [unrolled: 1-line block ×8, first 2 shown]
	v_add_f64 v[198:199], v[42:43], -v[82:83]
	buffer_store_dword v88, off, s[28:31], 0 ; 4-byte Folded Spill
	buffer_store_dword v89, off, s[28:31], 0 offset:4 ; 4-byte Folded Spill
	v_mul_f64 v[168:169], v[152:153], s[16:17]
	v_mul_f64 v[166:167], v[132:133], s[16:17]
	v_add_f64 v[170:171], v[120:121], v[170:171]
	v_add_f64 v[48:49], v[48:49], v[178:179]
	v_mul_f64 v[164:165], v[184:185], s[18:19]
	v_fma_f64 v[238:239], v[236:237], s[4:5], v[234:235]
	v_fma_f64 v[234:235], v[236:237], s[6:7], v[234:235]
	v_fma_f64 v[162:163], v[190:191], s[14:15], v[162:163]
	v_fma_f64 v[160:161], v[176:177], s[14:15], v[160:161]
	v_fma_f64 v[174:175], v[176:177], s[8:9], v[174:175]
	v_fma_f64 v[172:173], v[190:191], s[8:9], v[172:173]
	v_fma_f64 v[190:191], v[112:113], s[6:7], v[168:169]
	v_fma_f64 v[192:193], v[188:189], s[6:7], -v[166:167]
	v_add_f64 v[170:171], v[92:93], v[170:171]
	v_fma_f64 v[164:165], v[136:137], s[14:15], v[164:165]
	v_fma_f64 v[178:179], v[200:201], s[16:17], v[162:163]
	;; [unrolled: 1-line block ×5, first 2 shown]
	v_add_f64 v[196:197], v[80:81], -v[40:41]
	v_add_f64 v[200:201], v[72:73], v[148:149]
	v_add_f64 v[168:169], v[48:49], v[170:171]
	v_add_f64 v[162:163], v[170:171], -v[48:49]
	v_add_f64 v[48:49], v[148:149], -v[68:69]
	v_add_f64 v[166:167], v[178:179], -v[190:191]
	v_add_f64 v[170:171], v[160:161], v[164:165]
	v_add_f64 v[164:165], v[160:161], -v[164:165]
	v_fma_f64 v[200:201], v[200:201], -0.5, v[44:45]
	v_fma_f64 v[208:209], v[206:207], s[4:5], v[200:201]
	v_fma_f64 v[200:201], v[206:207], s[6:7], v[200:201]
	;; [unrolled: 1-line block ×3, first 2 shown]
	v_mul_f64 v[176:177], v[88:89], s[18:19]
	v_fma_f64 v[194:195], v[186:187], s[14:15], -v[176:177]
	v_add_f64 v[176:177], v[178:179], v[190:191]
	v_add_f64 v[190:191], v[72:73], -v[104:105]
	v_add_f64 v[178:179], v[172:173], v[192:193]
	v_add_f64 v[172:173], v[172:173], -v[192:193]
	v_add_f64 v[192:193], v[104:105], -v[72:73]
	v_add_f64 v[160:161], v[174:175], v[194:195]
	v_add_f64 v[174:175], v[174:175], -v[194:195]
	v_add_f64 v[48:49], v[190:191], v[48:49]
	v_add_f64 v[190:191], v[68:69], -v[148:149]
	v_add_f64 v[194:195], v[40:41], -v[80:81]
	v_add_f64 v[190:191], v[192:193], v[190:191]
	v_add_f64 v[192:193], v[100:101], -v[116:117]
	v_fma_f64 v[230:231], v[190:191], s[16:17], v[200:201]
	v_add_f64 v[192:193], v[194:195], v[192:193]
	v_add_f64 v[194:195], v[116:117], -v[100:101]
	v_add_f64 v[194:195], v[196:197], v[194:195]
	v_add_f64 v[196:197], v[102:103], -v[118:119]
	v_add_f64 v[198:199], v[198:199], v[196:197]
	v_add_f64 v[196:197], v[104:105], v[68:69]
	v_fma_f64 v[196:197], v[196:197], -0.5, v[44:45]
	v_add_f64 v[44:45], v[148:149], v[44:45]
	v_fma_f64 v[204:205], v[202:203], s[6:7], v[196:197]
	v_fma_f64 v[196:197], v[202:203], s[4:5], v[196:197]
	v_add_f64 v[44:45], v[68:69], v[44:45]
	v_fma_f64 v[204:205], v[206:207], s[14:15], v[204:205]
	v_fma_f64 v[196:197], v[206:207], s[8:9], v[196:197]
	;; [unrolled: 1-line block ×3, first 2 shown]
	v_add_f64 v[202:203], v[80:81], v[116:117]
	v_add_f64 v[208:209], v[40:41], v[100:101]
	;; [unrolled: 1-line block ×3, first 2 shown]
	v_fma_f64 v[204:205], v[48:49], s[16:17], v[204:205]
	v_fma_f64 v[232:233], v[48:49], s[16:17], v[196:197]
	;; [unrolled: 1-line block ×3, first 2 shown]
	v_fma_f64 v[202:203], v[202:203], -0.5, v[140:141]
	v_fma_f64 v[208:209], v[208:209], -0.5, v[140:141]
	v_add_f64 v[44:45], v[72:73], v[44:45]
	v_fma_f64 v[213:214], v[210:211], s[6:7], v[202:203]
	v_fma_f64 v[202:203], v[210:211], s[4:5], v[202:203]
	;; [unrolled: 1-line block ×6, first 2 shown]
	v_add_f64 v[202:203], v[82:83], v[118:119]
	v_fma_f64 v[217:218], v[210:211], s[14:15], v[217:218]
	v_fma_f64 v[208:209], v[210:211], s[8:9], v[208:209]
	v_add_f64 v[210:211], v[100:101], -v[40:41]
	v_add_f64 v[100:101], v[100:101], v[140:141]
	v_fma_f64 v[48:49], v[192:193], s[16:17], v[215:216]
	v_fma_f64 v[202:203], v[202:203], -0.5, v[142:143]
	v_fma_f64 v[196:197], v[194:195], s[16:17], v[217:218]
	v_fma_f64 v[190:191], v[194:195], s[16:17], v[208:209]
	v_add_f64 v[208:209], v[126:127], -v[62:63]
	v_add_f64 v[100:101], v[116:117], v[100:101]
	v_mul_f64 v[140:141], v[48:49], s[18:19]
	v_fma_f64 v[219:220], v[210:211], s[4:5], v[202:203]
	v_fma_f64 v[202:203], v[210:211], s[6:7], v[202:203]
	v_mul_f64 v[116:117], v[190:191], s[16:17]
	v_fma_f64 v[238:239], v[208:209], s[14:15], v[238:239]
	v_add_f64 v[80:81], v[80:81], v[100:101]
	v_mul_f64 v[100:101], v[196:197], s[16:17]
	v_fma_f64 v[234:235], v[208:209], s[8:9], v[234:235]
	v_fma_f64 v[219:220], v[223:224], s[8:9], v[219:220]
	;; [unrolled: 1-line block ×5, first 2 shown]
	v_add_f64 v[223:224], v[118:119], -v[102:103]
	v_add_f64 v[40:41], v[40:41], v[80:81]
	v_add_f64 v[223:224], v[227:228], v[223:224]
	v_fma_f64 v[227:228], v[210:211], s[8:9], v[202:203]
	v_fma_f64 v[210:211], v[210:211], s[14:15], v[221:222]
	;; [unrolled: 1-line block ×4, first 2 shown]
	v_add_f64 v[214:215], v[40:41], v[44:45]
	v_fma_f64 v[198:199], v[198:199], s[16:17], v[225:226]
	v_fma_f64 v[194:195], v[223:224], s[16:17], v[227:228]
	;; [unrolled: 1-line block ×3, first 2 shown]
	v_mul_f64 v[80:81], v[202:203], s[18:19]
	v_add_f64 v[228:229], v[44:45], -v[40:41]
	v_add_f64 v[40:41], v[128:129], -v[52:53]
	;; [unrolled: 1-line block ×3, first 2 shown]
	v_fma_f64 v[140:141], v[198:199], s[14:15], -v[140:141]
	v_fma_f64 v[100:101], v[194:195], s[6:7], v[100:101]
	v_fma_f64 v[116:117], v[200:201], s[6:7], -v[116:117]
	v_fma_f64 v[80:81], v[192:193], s[14:15], v[80:81]
	v_add_f64 v[40:41], v[44:45], v[40:41]
	v_add_f64 v[44:45], v[84:85], v[52:53]
	;; [unrolled: 1-line block ×3, first 2 shown]
	v_add_f64 v[232:233], v[232:233], -v[140:141]
	v_add_f64 v[140:141], v[54:55], -v[86:87]
	;; [unrolled: 1-line block ×3, first 2 shown]
	v_add_f64 v[224:225], v[230:231], v[116:117]
	v_add_f64 v[216:217], v[204:205], v[80:81]
	v_add_f64 v[218:219], v[204:205], -v[80:81]
	v_add_f64 v[230:231], v[230:231], -v[116:117]
	;; [unrolled: 1-line block ×3, first 2 shown]
	v_fma_f64 v[44:45], v[44:45], -0.5, v[108:109]
	v_add_f64 v[116:117], v[64:65], v[128:129]
	v_add_f64 v[222:223], v[206:207], v[100:101]
	v_add_f64 v[206:207], v[84:85], -v[64:65]
	v_fma_f64 v[100:101], v[80:81], s[6:7], v[44:45]
	v_fma_f64 v[44:45], v[80:81], s[4:5], v[44:45]
	v_fma_f64 v[116:117], v[116:117], -0.5, v[108:109]
	v_add_f64 v[108:109], v[128:129], v[108:109]
	v_fma_f64 v[100:101], v[140:141], s[14:15], v[100:101]
	v_fma_f64 v[44:45], v[140:141], s[8:9], v[44:45]
	;; [unrolled: 1-line block ×4, first 2 shown]
	v_add_f64 v[140:141], v[52:53], -v[128:129]
	v_add_f64 v[108:109], v[52:53], v[108:109]
	v_fma_f64 v[254:255], v[40:41], s[16:17], v[44:45]
	v_fma_f64 v[204:205], v[80:81], s[14:15], v[204:205]
	;; [unrolled: 1-line block ×3, first 2 shown]
	v_add_f64 v[140:141], v[206:207], v[140:141]
	v_add_f64 v[116:117], v[124:125], -v[96:97]
	v_add_f64 v[206:207], v[60:61], -v[56:57]
	v_fma_f64 v[88:89], v[140:141], s[16:17], v[204:205]
	v_fma_f64 v[140:141], v[140:141], s[16:17], v[80:81]
	v_add_f64 v[116:117], v[206:207], v[116:117]
	v_add_f64 v[206:207], v[56:57], v[96:97]
	v_fma_f64 v[206:207], v[206:207], -0.5, v[76:77]
	v_add_f64 v[76:77], v[124:125], v[76:77]
	v_fma_f64 v[210:211], v[208:209], s[6:7], v[206:207]
	v_fma_f64 v[206:207], v[208:209], s[4:5], v[206:207]
	v_add_f64 v[208:209], v[126:127], -v[98:99]
	v_add_f64 v[76:77], v[96:97], v[76:77]
	v_fma_f64 v[210:211], v[236:237], s[14:15], v[210:211]
	v_fma_f64 v[206:207], v[236:237], s[8:9], v[206:207]
	v_add_f64 v[236:237], v[96:97], -v[124:125]
	v_add_f64 v[56:57], v[56:57], v[76:77]
	v_add_f64 v[96:97], v[84:85], v[108:109]
	v_add_f64 v[124:125], v[12:13], -v[32:33]
	v_fma_f64 v[210:211], v[116:117], s[16:17], v[210:211]
	v_add_f64 v[236:237], v[240:241], v[236:237]
	v_add_f64 v[240:241], v[62:63], -v[58:59]
	v_add_f64 v[56:57], v[60:61], v[56:57]
	v_add_f64 v[76:77], v[64:65], v[96:97]
	v_mul_f64 v[60:61], v[210:211], s[18:19]
	v_fma_f64 v[44:45], v[236:237], s[16:17], v[234:235]
	v_add_f64 v[240:241], v[240:241], v[208:209]
	v_add_f64 v[208:209], v[58:59], v[98:99]
	;; [unrolled: 1-line block ×3, first 2 shown]
	v_mul_f64 v[108:109], v[44:45], s[16:17]
	v_fma_f64 v[208:209], v[208:209], -0.5, v[78:79]
	v_fma_f64 v[244:245], v[242:243], s[4:5], v[208:209]
	v_fma_f64 v[208:209], v[242:243], s[6:7], v[208:209]
	;; [unrolled: 1-line block ×6, first 2 shown]
	v_add_f64 v[248:249], v[98:99], -v[126:127]
	v_fma_f64 v[80:81], v[240:241], s[16:17], v[244:245]
	v_fma_f64 v[204:205], v[240:241], s[16:17], v[250:251]
	v_add_f64 v[248:249], v[252:253], v[248:249]
	v_fma_f64 v[252:253], v[242:243], s[8:9], v[208:209]
	v_fma_f64 v[242:243], v[242:243], s[14:15], v[246:247]
	;; [unrolled: 1-line block ×8, first 2 shown]
	v_add_f64 v[248:249], v[76:77], -v[56:57]
	v_mul_u32_u24_e32 v56, 10, v212
	v_mul_f64 v[96:97], v[208:209], s[16:17]
	v_mul_f64 v[116:117], v[40:41], s[18:19]
	v_add_f64 v[76:77], v[18:19], -v[34:35]
	v_lshl_add_u32 v213, v56, 3, 0
	v_add_f64 v[56:57], v[16:17], -v[36:37]
	v_add_f64 v[236:237], v[246:247], v[60:61]
	v_add_f64 v[238:239], v[246:247], -v[60:61]
	v_add_f64 v[60:61], v[32:33], -v[12:13]
	v_fma_f64 v[108:109], v[206:207], s[6:7], -v[108:109]
	v_fma_f64 v[96:97], v[100:101], s[6:7], v[96:97]
	v_fma_f64 v[116:117], v[204:205], s[14:15], -v[116:117]
	v_add_f64 v[56:57], v[60:61], v[56:57]
	v_add_f64 v[60:61], v[12:13], v[36:37]
	;; [unrolled: 1-line block ×3, first 2 shown]
	v_add_f64 v[250:251], v[140:141], -v[108:109]
	v_add_f64 v[108:109], v[38:39], -v[14:15]
	;; [unrolled: 1-line block ×3, first 2 shown]
	v_add_f64 v[242:243], v[88:89], v[96:97]
	v_add_f64 v[96:97], v[32:33], v[16:17]
	;; [unrolled: 1-line block ×3, first 2 shown]
	v_add_f64 v[252:253], v[254:255], -v[116:117]
	ds_write_b128 v213, v[168:171]
	ds_write_b128 v213, v[176:179] offset:16
	ds_write_b128 v213, v[160:163] offset:32
	;; [unrolled: 1-line block ×14, first 2 shown]
	v_add_f64 v[140:141], v[16:17], -v[32:33]
	v_add_f64 v[162:163], v[34:35], v[18:19]
	v_fma_f64 v[60:61], v[60:61], -0.5, v[4:5]
	v_add_f64 v[164:165], v[36:37], -v[12:13]
	v_add_f64 v[168:169], v[14:15], -v[34:35]
	v_fma_f64 v[96:97], v[96:97], -0.5, v[4:5]
	v_fma_f64 v[162:163], v[162:163], -0.5, v[6:7]
	v_fma_f64 v[88:89], v[76:77], s[6:7], v[60:61]
	v_fma_f64 v[60:61], v[76:77], s[4:5], v[60:61]
	;; [unrolled: 1-line block ×6, first 2 shown]
	v_add_f64 v[108:109], v[36:37], -v[16:17]
	v_add_f64 v[108:109], v[124:125], v[108:109]
	v_fma_f64 v[124:125], v[76:77], s[14:15], v[116:117]
	v_fma_f64 v[76:77], v[76:77], s[8:9], v[96:97]
	v_add_f64 v[96:97], v[18:19], -v[38:39]
	v_add_f64 v[116:117], v[34:35], -v[14:15]
	v_add_f64 v[96:97], v[116:117], v[96:97]
	v_add_f64 v[116:117], v[14:15], v[38:39]
	v_fma_f64 v[116:117], v[116:117], -0.5, v[6:7]
	v_fma_f64 v[160:161], v[140:141], s[4:5], v[116:117]
	v_fma_f64 v[116:117], v[140:141], s[6:7], v[116:117]
	;; [unrolled: 1-line block ×6, first 2 shown]
	v_add_f64 v[164:165], v[38:39], -v[18:19]
	v_fma_f64 v[172:173], v[140:141], s[8:9], v[116:117]
	v_fma_f64 v[174:175], v[140:141], s[14:15], v[162:163]
	v_add_f64 v[170:171], v[168:169], v[164:165]
	v_fma_f64 v[168:169], v[56:57], s[16:17], v[88:89]
	v_fma_f64 v[116:117], v[56:57], s[16:17], v[60:61]
	;; [unrolled: 1-line block ×8, first 2 shown]
	s_and_saveexec_b32 s1, s0
	s_cbranch_execz .LBB0_17
; %bb.16:
	v_add_f64 v[56:57], v[8:9], v[20:21]
	v_add_f64 v[60:61], v[24:25], v[28:29]
	v_add_f64 v[76:77], v[30:31], -v[26:27]
	v_add_f64 v[88:89], v[28:29], v[0:1]
	v_add_f64 v[4:5], v[16:17], v[4:5]
	v_add_f64 v[16:17], v[22:23], -v[10:11]
	v_add_f64 v[96:97], v[24:25], -v[8:9]
	;; [unrolled: 1-line block ×3, first 2 shown]
	v_mul_f64 v[214:215], v[168:169], s[18:19]
	v_mul_f64 v[176:177], v[124:125], s[16:17]
	;; [unrolled: 1-line block ×4, first 2 shown]
	v_fma_f64 v[56:57], v[56:57], -0.5, v[0:1]
	v_fma_f64 v[0:1], v[60:61], -0.5, v[0:1]
	v_add_f64 v[60:61], v[28:29], -v[20:21]
	v_add_f64 v[88:89], v[20:21], v[88:89]
	v_add_f64 v[4:5], v[36:37], v[4:5]
	v_add_f64 v[36:37], v[8:9], -v[24:25]
	v_fma_f64 v[170:171], v[76:77], s[4:5], v[56:57]
	v_fma_f64 v[172:173], v[16:17], s[4:5], v[0:1]
	v_fma_f64 v[0:1], v[16:17], s[6:7], v[0:1]
	v_fma_f64 v[56:57], v[76:77], s[6:7], v[56:57]
	v_add_f64 v[60:61], v[96:97], v[60:61]
	v_add_f64 v[88:89], v[8:9], v[88:89]
	;; [unrolled: 1-line block ×4, first 2 shown]
	v_fma_f64 v[108:109], v[160:161], s[6:7], v[178:179]
	v_fma_f64 v[36:37], v[16:17], s[8:9], v[170:171]
	;; [unrolled: 1-line block ×5, first 2 shown]
	v_fma_f64 v[76:77], v[166:167], s[6:7], -v[176:177]
	v_add_f64 v[88:89], v[24:25], v[88:89]
	v_add_f64 v[4:5], v[32:33], v[4:5]
	v_fma_f64 v[32:33], v[140:141], s[14:15], v[214:215]
	v_fma_f64 v[56:57], v[162:163], s[14:15], -v[174:175]
	v_fma_f64 v[36:37], v[60:61], s[16:17], v[36:37]
	v_fma_f64 v[96:97], v[12:13], s[16:17], v[96:97]
	;; [unrolled: 1-line block ×4, first 2 shown]
	v_add_f64 v[174:175], v[4:5], v[88:89]
	v_add_f64 v[172:173], v[88:89], -v[4:5]
	v_add_f64 v[170:171], v[36:37], v[56:57]
	v_add_f64 v[222:223], v[96:97], v[108:109]
	;; [unrolled: 1-line block ×4, first 2 shown]
	v_add_f64 v[220:221], v[96:97], -v[108:109]
	v_add_f64 v[218:219], v[12:13], -v[32:33]
	;; [unrolled: 1-line block ×4, first 2 shown]
	ds_write_b128 v213, v[174:177] offset:14400
	ds_write_b128 v213, v[222:225] offset:14416
	;; [unrolled: 1-line block ×5, first 2 shown]
.LBB0_17:
	s_or_b32 exec_lo, exec_lo, s1
	v_add_f64 v[78:79], v[126:127], v[78:79]
	v_add_f64 v[0:1], v[122:123], v[146:147]
	;; [unrolled: 1-line block ×3, first 2 shown]
	v_add_f64 v[16:17], v[156:157], -v[92:93]
	v_add_f64 v[32:33], v[144:145], -v[120:121]
	v_add_f64 v[88:89], v[134:135], v[154:155]
	v_add_f64 v[144:145], v[106:107], v[70:71]
	v_add_f64 v[72:73], v[148:149], -v[72:73]
	v_add_f64 v[148:149], v[74:75], v[150:151]
	v_add_f64 v[102:103], v[102:103], v[142:143]
	;; [unrolled: 1-line block ×5, first 2 shown]
	v_add_f64 v[36:37], v[158:159], -v[146:147]
	v_add_f64 v[56:57], v[94:95], -v[122:123]
	;; [unrolled: 1-line block ×4, first 2 shown]
	v_mul_f64 v[92:93], v[184:185], s[8:9]
	v_mul_f64 v[96:97], v[152:153], s[4:5]
	;; [unrolled: 1-line block ×3, first 2 shown]
	v_add_f64 v[134:135], v[150:151], v[46:47]
	v_add_f64 v[68:69], v[68:69], -v[104:105]
	v_add_f64 v[78:79], v[98:99], v[78:79]
	v_fma_f64 v[0:1], v[0:1], -0.5, v[90:91]
	v_fma_f64 v[4:5], v[4:5], -0.5, v[90:91]
	v_add_f64 v[174:175], v[130:131], v[110:111]
	v_add_f64 v[64:65], v[128:129], -v[64:65]
	v_add_f64 v[52:53], v[52:53], -v[84:85]
	v_add_f64 v[88:89], v[138:139], v[88:89]
	v_fma_f64 v[138:139], v[144:145], -0.5, v[46:47]
	v_fma_f64 v[46:47], v[148:149], -0.5, v[46:47]
	v_add_f64 v[104:105], v[150:151], -v[70:71]
	v_fma_f64 v[142:143], v[142:143], -0.5, v[110:111]
	v_fma_f64 v[110:111], v[156:157], -0.5, v[110:111]
	v_add_f64 v[152:153], v[74:75], -v[106:107]
	v_add_f64 v[90:91], v[70:71], -v[150:151]
	v_add_f64 v[150:151], v[106:107], -v[74:75]
	v_add_f64 v[84:85], v[130:131], -v[54:55]
	v_add_f64 v[128:129], v[66:67], -v[86:87]
	v_add_f64 v[12:13], v[146:147], v[12:13]
	v_add_f64 v[130:131], v[54:55], -v[130:131]
	v_add_f64 v[144:145], v[86:87], -v[66:67]
	v_add_f64 v[36:37], v[56:57], v[36:37]
	v_add_f64 v[56:57], v[76:77], v[60:61]
	;; [unrolled: 1-line block ×3, first 2 shown]
	s_clause 0x1
	buffer_load_dword v78, off, s[28:31], 0
	buffer_load_dword v79, off, s[28:31], 0 offset:4
	v_fma_f64 v[146:147], v[16:17], s[4:5], v[0:1]
	v_fma_f64 v[148:149], v[32:33], s[6:7], v[4:5]
	v_fma_f64 v[60:61], v[136:137], s[18:19], v[92:93]
	v_add_f64 v[70:71], v[70:71], v[134:135]
	v_add_f64 v[76:77], v[118:119], v[102:103]
	v_fma_f64 v[4:5], v[32:33], s[4:5], v[4:5]
	v_fma_f64 v[0:1], v[16:17], s[6:7], v[0:1]
	v_add_f64 v[88:89], v[114:115], v[88:89]
	v_fma_f64 v[92:93], v[72:73], s[4:5], v[138:139]
	v_fma_f64 v[102:103], v[72:73], s[6:7], v[138:139]
	;; [unrolled: 1-line block ×5, first 2 shown]
	v_fma_f64 v[108:109], v[132:133], s[4:5], -v[108:109]
	v_add_f64 v[54:55], v[54:55], v[174:175]
	v_fma_f64 v[112:113], v[64:65], s[4:5], v[142:143]
	v_fma_f64 v[132:133], v[64:65], s[6:7], v[142:143]
	;; [unrolled: 1-line block ×4, first 2 shown]
	v_mul_f64 v[120:121], v[186:187], s[18:19]
	v_mul_f64 v[154:155], v[202:203], s[8:9]
	;; [unrolled: 1-line block ×9, first 2 shown]
	v_add_f64 v[12:13], v[122:123], v[12:13]
	v_fma_f64 v[118:119], v[32:33], s[8:9], v[146:147]
	v_fma_f64 v[122:123], v[16:17], s[8:9], v[148:149]
	v_add_f64 v[98:99], v[152:153], v[104:105]
	v_add_f64 v[90:91], v[150:151], v[90:91]
	;; [unrolled: 1-line block ×4, first 2 shown]
	v_fma_f64 v[4:5], v[16:17], s[14:15], v[4:5]
	v_fma_f64 v[0:1], v[32:33], s[14:15], v[0:1]
	v_add_f64 v[16:17], v[50:51], v[88:89]
	v_fma_f64 v[32:33], v[68:69], s[8:9], v[92:93]
	v_fma_f64 v[50:51], v[68:69], s[14:15], v[102:103]
	;; [unrolled: 1-line block ×4, first 2 shown]
	v_add_f64 v[84:85], v[128:129], v[84:85]
	v_add_f64 v[88:89], v[144:145], v[130:131]
	;; [unrolled: 1-line block ×3, first 2 shown]
	v_fma_f64 v[86:87], v[52:53], s[8:9], v[112:113]
	v_fma_f64 v[52:53], v[52:53], s[14:15], v[132:133]
	;; [unrolled: 1-line block ×5, first 2 shown]
	v_add_f64 v[12:13], v[94:95], v[12:13]
	v_fma_f64 v[72:73], v[36:37], s[16:17], v[118:119]
	v_fma_f64 v[82:83], v[56:57], s[16:17], v[122:123]
	;; [unrolled: 1-line block ×3, first 2 shown]
	v_fma_f64 v[48:49], v[48:49], s[8:9], -v[172:173]
	v_add_f64 v[70:71], v[74:75], v[70:71]
	v_add_f64 v[58:59], v[62:63], v[58:59]
	v_fma_f64 v[4:5], v[56:57], s[16:17], v[4:5]
	v_fma_f64 v[0:1], v[36:37], s[16:17], v[0:1]
	v_add_f64 v[36:37], v[42:43], v[76:77]
	v_fma_f64 v[32:33], v[98:99], s[16:17], v[32:33]
	v_fma_f64 v[42:43], v[98:99], s[16:17], v[50:51]
	;; [unrolled: 1-line block ×4, first 2 shown]
	v_fma_f64 v[56:57], v[190:191], s[4:5], -v[170:171]
	v_fma_f64 v[62:63], v[80:81], s[18:19], v[126:127]
	v_add_f64 v[54:55], v[66:67], v[54:55]
	v_fma_f64 v[66:67], v[84:85], s[16:17], v[86:87]
	v_fma_f64 v[52:53], v[84:85], s[16:17], v[52:53]
	;; [unrolled: 1-line block ×5, first 2 shown]
	v_fma_f64 v[44:45], v[44:45], s[4:5], -v[178:179]
	v_fma_f64 v[40:41], v[40:41], s[8:9], -v[156:157]
	v_lshl_add_u32 v170, v212, 3, 0
	v_add_f64 v[114:115], v[72:73], v[60:61]
	v_add_f64 v[118:119], v[82:83], v[96:97]
	v_add_f64 v[130:131], v[72:73], -v[60:61]
	v_add_f64 v[132:133], v[82:83], -v[96:97]
	v_add_nc_u32_e32 v171, 0x800, v170
	v_add_nc_u32_e32 v178, 0x1400, v170
	;; [unrolled: 1-line block ×11, first 2 shown]
	v_add_f64 v[134:135], v[4:5], -v[108:109]
	v_add_f64 v[142:143], v[36:37], v[70:71]
	v_add_f64 v[144:145], v[32:33], v[94:95]
	;; [unrolled: 1-line block ×5, first 2 shown]
	v_add_f64 v[152:153], v[70:71], -v[36:37]
	v_add_f64 v[154:155], v[32:33], -v[94:95]
	v_add_f64 v[156:157], v[50:51], -v[102:103]
	v_add_f64 v[187:188], v[46:47], -v[56:57]
	v_add_f64 v[189:190], v[42:43], -v[48:49]
	v_add_f64 v[191:192], v[58:59], v[54:55]
	v_add_f64 v[193:194], v[66:67], v[62:63]
	;; [unrolled: 1-line block ×5, first 2 shown]
	v_add_f64 v[201:202], v[54:55], -v[58:59]
	v_add_f64 v[203:204], v[66:67], -v[62:63]
	;; [unrolled: 1-line block ×5, first 2 shown]
	s_waitcnt vmcnt(0) lgkmcnt(0)
	s_waitcnt_vscnt null, 0x0
	s_barrier
	buffer_gl0_inv
	ds_read2_b64 v[48:51], v170 offset1:60
	ds_read2_b64 v[88:91], v171 offset0:104 offset1:164
	ds_read2_b64 v[84:87], v178 offset0:80 offset1:140
	;; [unrolled: 1-line block ×3, first 2 shown]
	v_add_f64 v[112:113], v[16:17], v[12:13]
	v_add_f64 v[128:129], v[12:13], -v[16:17]
	v_add_nc_u32_e32 v186, 0xb4, v212
	v_fma_f64 v[78:79], v[78:79], s[8:9], -v[120:121]
	v_add_f64 v[120:121], v[4:5], v[108:109]
	v_add_f64 v[126:127], v[0:1], v[78:79]
	v_add_f64 v[136:137], v[0:1], -v[78:79]
	ds_read2_b64 v[76:79], v174 offset0:160 offset1:220
	ds_read2_b64 v[72:75], v177 offset0:8 offset1:68
	;; [unrolled: 1-line block ×14, first 2 shown]
	s_waitcnt lgkmcnt(0)
	s_barrier
	buffer_gl0_inv
	ds_write_b128 v213, v[112:115]
	ds_write_b128 v213, v[118:121] offset:16
	ds_write_b128 v213, v[126:129] offset:32
	;; [unrolled: 1-line block ×14, first 2 shown]
	s_and_saveexec_b32 s1, s0
	s_cbranch_execz .LBB0_19
; %bb.18:
	v_add_f64 v[0:1], v[10:11], v[22:23]
	v_add_f64 v[4:5], v[26:27], v[30:31]
	;; [unrolled: 1-line block ×3, first 2 shown]
	v_add_f64 v[16:17], v[28:29], -v[24:25]
	v_add_f64 v[6:7], v[18:19], v[6:7]
	v_add_f64 v[8:9], v[20:21], -v[8:9]
	s_mov_b32 s4, 0x134454ff
	s_mov_b32 s5, 0xbfee6f0e
	;; [unrolled: 1-line block ×4, first 2 shown]
	v_add_f64 v[18:19], v[26:27], -v[10:11]
	v_add_f64 v[20:21], v[22:23], -v[30:31]
	;; [unrolled: 1-line block ×3, first 2 shown]
	s_mov_b32 s8, 0x372fe950
	s_mov_b32 s9, 0x3fd3c6ef
	s_mov_b32 s15, 0x3fe2cf23
	s_mov_b32 s16, 0x9b97f4a8
	s_mov_b32 s17, 0x3fe9e377
	v_mul_f64 v[32:33], v[164:165], s[4:5]
	v_mul_f64 v[36:37], v[166:167], s[8:9]
	v_fma_f64 v[0:1], v[0:1], -0.5, v[2:3]
	v_fma_f64 v[2:3], v[4:5], -0.5, v[2:3]
	v_add_f64 v[4:5], v[30:31], -v[22:23]
	v_add_f64 v[12:13], v[22:23], v[12:13]
	v_add_f64 v[6:7], v[38:39], v[6:7]
	v_mul_f64 v[38:39], v[162:163], s[16:17]
	v_fma_f64 v[22:23], v[16:17], s[4:5], v[0:1]
	v_fma_f64 v[28:29], v[8:9], s[6:7], v[2:3]
	;; [unrolled: 1-line block ×4, first 2 shown]
	s_mov_b32 s6, 0x4755a5e
	s_mov_b32 s7, 0xbfe2cf23
	;; [unrolled: 1-line block ×3, first 2 shown]
	v_mul_f64 v[30:31], v[168:169], s[6:7]
	v_add_f64 v[4:5], v[18:19], v[4:5]
	v_add_f64 v[10:11], v[10:11], v[12:13]
	;; [unrolled: 1-line block ×4, first 2 shown]
	v_fma_f64 v[20:21], v[160:161], s[8:9], v[32:33]
	v_fma_f64 v[24:25], v[116:117], s[6:7], -v[38:39]
	v_fma_f64 v[14:15], v[8:9], s[6:7], v[22:23]
	v_fma_f64 v[18:19], v[16:17], s[6:7], v[28:29]
	;; [unrolled: 1-line block ×4, first 2 shown]
	v_fma_f64 v[22:23], v[124:125], s[4:5], -v[36:37]
	v_fma_f64 v[16:17], v[140:141], s[16:17], v[30:31]
	v_add_f64 v[8:9], v[26:27], v[10:11]
	v_add_f64 v[6:7], v[34:35], v[6:7]
	v_fma_f64 v[14:15], v[4:5], s[8:9], v[14:15]
	v_fma_f64 v[18:19], v[12:13], s[8:9], v[18:19]
	;; [unrolled: 1-line block ×4, first 2 shown]
	v_add_f64 v[0:1], v[6:7], v[8:9]
	v_add_f64 v[6:7], v[8:9], -v[6:7]
	v_add_f64 v[2:3], v[14:15], v[16:17]
	v_add_f64 v[8:9], v[18:19], v[20:21]
	;; [unrolled: 1-line block ×4, first 2 shown]
	v_add_f64 v[12:13], v[14:15], -v[16:17]
	v_add_f64 v[14:15], v[18:19], -v[20:21]
	;; [unrolled: 1-line block ×4, first 2 shown]
	v_mul_u32_u24_e32 v20, 10, v186
	v_lshl_add_u32 v20, v20, 3, 0
	ds_write_b128 v20, v[0:3]
	ds_write_b128 v20, v[8:11] offset:16
	ds_write_b128 v20, v[4:7] offset:32
	;; [unrolled: 1-line block ×4, first 2 shown]
.LBB0_19:
	s_or_b32 exec_lo, exec_lo, s1
	v_add_nc_u32_e32 v162, 0xf0, v212
	v_mov_b32_e32 v14, 0xcccd
	v_mov_b32_e32 v34, 5
	s_waitcnt lgkmcnt(0)
	s_barrier
	buffer_gl0_inv
	v_mul_u32_u24_sdwa v0, v162, v14 dst_sel:DWORD dst_unused:UNUSED_PAD src0_sel:WORD_0 src1_sel:DWORD
	ds_read2_b64 v[4:7], v173 offset0:88 offset1:148
	v_add_nc_u32_e32 v164, 0x12c, v212
	v_and_b32_e32 v163, 0xff, v186
	v_add_nc_u16 v166, v212, 0x78
	v_lshrrev_b32_e32 v169, 19, v0
	s_mov_b32 s0, 0xe8584caa
	s_mov_b32 s1, 0x3febb67a
	;; [unrolled: 1-line block ×3, first 2 shown]
	v_and_b32_e32 v167, 0xff, v166
	v_mul_lo_u16 v0, v169, 10
	s_mov_b32 s4, s0
	v_mov_b32_e32 v198, 0x1e0
	v_mov_b32_e32 v191, 3
	v_sub_nc_u16 v187, v162, v0
	v_mul_u32_u24_sdwa v0, v187, v34 dst_sel:DWORD dst_unused:UNUSED_PAD src0_sel:WORD_0 src1_sel:DWORD
	v_lshlrev_b32_e32 v16, 4, v0
	s_clause 0x1
	global_load_dwordx4 v[0:3], v16, s[12:13]
	global_load_dwordx4 v[8:11], v16, s[12:13] offset:16
	s_waitcnt vmcnt(1) lgkmcnt(0)
	v_mul_f64 v[12:13], v[4:5], v[2:3]
	v_mul_f64 v[2:3], v[108:109], v[2:3]
	v_fma_f64 v[18:19], v[108:109], v[0:1], -v[12:13]
	v_fma_f64 v[108:109], v[4:5], v[0:1], v[2:3]
	v_mul_u32_u24_sdwa v0, v164, v14 dst_sel:DWORD dst_unused:UNUSED_PAD src0_sel:WORD_0 src1_sel:DWORD
	v_lshrrev_b32_e32 v165, 19, v0
	v_mul_lo_u16 v0, v165, 10
	v_sub_nc_u16 v168, v164, v0
	v_mul_u32_u24_sdwa v0, v168, v34 dst_sel:DWORD dst_unused:UNUSED_PAD src0_sel:WORD_0 src1_sel:DWORD
	v_lshlrev_b32_e32 v30, 4, v0
	s_clause 0x1
	global_load_dwordx4 v[0:3], v30, s[12:13]
	global_load_dwordx4 v[26:29], v16, s[12:13] offset:64
	s_waitcnt vmcnt(1)
	v_mul_f64 v[4:5], v[6:7], v[2:3]
	v_mul_f64 v[2:3], v[110:111], v[2:3]
	v_fma_f64 v[14:15], v[110:111], v[0:1], -v[4:5]
	v_fma_f64 v[110:111], v[6:7], v[0:1], v[2:3]
	ds_read2_b64 v[0:3], v179 offset0:192 offset1:252
	s_waitcnt lgkmcnt(0)
	v_mul_f64 v[4:5], v[0:1], v[10:11]
	v_fma_f64 v[112:113], v[104:105], v[8:9], -v[4:5]
	v_mul_f64 v[4:5], v[104:105], v[10:11]
	v_fma_f64 v[114:115], v[0:1], v[8:9], v[4:5]
	s_clause 0x1
	global_load_dwordx4 v[4:7], v30, s[12:13] offset:16
	global_load_dwordx4 v[8:11], v30, s[12:13] offset:32
	s_waitcnt vmcnt(1)
	v_mul_f64 v[0:1], v[2:3], v[6:7]
	v_fma_f64 v[104:105], v[106:107], v[4:5], -v[0:1]
	v_mul_f64 v[0:1], v[106:107], v[6:7]
	v_fma_f64 v[106:107], v[2:3], v[4:5], v[0:1]
	s_clause 0x1
	global_load_dwordx4 v[0:3], v16, s[12:13] offset:32
	global_load_dwordx4 v[4:7], v16, s[12:13] offset:48
	ds_read2_b64 v[22:25], v174 offset0:40 offset1:100
	s_waitcnt vmcnt(1) lgkmcnt(0)
	v_mul_f64 v[12:13], v[22:23], v[2:3]
	v_mul_f64 v[2:3], v[100:101], v[2:3]
	v_fma_f64 v[20:21], v[100:101], v[0:1], -v[12:13]
	v_fma_f64 v[116:117], v[22:23], v[0:1], v[2:3]
	v_mul_f64 v[0:1], v[24:25], v[10:11]
	v_fma_f64 v[16:17], v[102:103], v[8:9], -v[0:1]
	v_mul_f64 v[0:1], v[102:103], v[10:11]
	v_fma_f64 v[100:101], v[24:25], v[8:9], v[0:1]
	ds_read2_b64 v[0:3], v184 offset0:144 offset1:204
	s_waitcnt vmcnt(0) lgkmcnt(0)
	v_mul_f64 v[8:9], v[0:1], v[6:7]
	v_mul_f64 v[6:7], v[96:97], v[6:7]
	v_fma_f64 v[102:103], v[96:97], v[4:5], -v[8:9]
	v_fma_f64 v[96:97], v[0:1], v[4:5], v[6:7]
	s_clause 0x1
	global_load_dwordx4 v[4:7], v30, s[12:13] offset:48
	global_load_dwordx4 v[8:11], v30, s[12:13] offset:64
	s_waitcnt vmcnt(1)
	v_mul_f64 v[0:1], v[2:3], v[6:7]
	v_fma_f64 v[118:119], v[98:99], v[4:5], -v[0:1]
	v_mul_f64 v[0:1], v[98:99], v[6:7]
	v_fma_f64 v[98:99], v[2:3], v[4:5], v[0:1]
	ds_read2_b64 v[0:3], v185 offset0:120 offset1:180
	s_waitcnt lgkmcnt(0)
	v_mul_f64 v[4:5], v[0:1], v[28:29]
	v_fma_f64 v[24:25], v[92:93], v[26:27], -v[4:5]
	v_mul_f64 v[4:5], v[92:93], v[28:29]
	v_fma_f64 v[92:93], v[0:1], v[26:27], v[4:5]
	s_waitcnt vmcnt(0)
	v_mul_f64 v[0:1], v[2:3], v[10:11]
	ds_read2_b64 v[4:7], v171 offset0:104 offset1:164
	v_fma_f64 v[22:23], v[94:95], v[8:9], -v[0:1]
	v_mul_f64 v[0:1], v[94:95], v[10:11]
	v_fma_f64 v[94:95], v[2:3], v[8:9], v[0:1]
	v_and_b32_e32 v0, 0xff, v212
	v_mul_lo_u16 v0, 0xcd, v0
	v_lshrrev_b16 v33, 11, v0
	v_mul_lo_u16 v0, v33, 10
	v_mul_u32_u24_sdwa v33, v33, v198 dst_sel:DWORD dst_unused:UNUSED_PAD src0_sel:WORD_0 src1_sel:DWORD
	v_sub_nc_u16 v32, v212, v0
	v_mul_u32_u24_sdwa v0, v32, v34 dst_sel:DWORD dst_unused:UNUSED_PAD src0_sel:BYTE_0 src1_sel:DWORD
	v_lshlrev_b32_sdwa v32, v191, v32 dst_sel:DWORD dst_unused:UNUSED_PAD src0_sel:DWORD src1_sel:BYTE_0
	v_lshlrev_b32_e32 v39, 4, v0
	s_clause 0x1
	global_load_dwordx4 v[0:3], v39, s[12:13]
	global_load_dwordx4 v[8:11], v39, s[12:13] offset:16
	s_waitcnt vmcnt(1) lgkmcnt(0)
	v_mul_f64 v[12:13], v[4:5], v[2:3]
	v_mul_f64 v[2:3], v[88:89], v[2:3]
	v_fma_f64 v[160:161], v[88:89], v[0:1], -v[12:13]
	v_fma_f64 v[0:1], v[4:5], v[0:1], v[2:3]
	v_add_nc_u16 v2, v212, 60
	v_and_b32_e32 v3, 0xff, v2
	v_mul_lo_u16 v3, 0xcd, v3
	v_lshrrev_b16 v146, 11, v3
	v_mul_lo_u16 v3, v146, 10
	v_sub_nc_u16 v147, v2, v3
	v_mul_u32_u24_sdwa v2, v147, v34 dst_sel:DWORD dst_unused:UNUSED_PAD src0_sel:BYTE_0 src1_sel:DWORD
	v_lshlrev_b32_e32 v128, 4, v2
	s_clause 0x1
	global_load_dwordx4 v[2:5], v128, s[12:13]
	global_load_dwordx4 v[35:38], v39, s[12:13] offset:64
	ds_read2_b64 v[28:31], v178 offset0:80 offset1:140
	s_waitcnt vmcnt(1)
	v_mul_f64 v[12:13], v[6:7], v[4:5]
	v_mul_f64 v[4:5], v[90:91], v[4:5]
	v_fma_f64 v[26:27], v[90:91], v[2:3], -v[12:13]
	v_fma_f64 v[88:89], v[6:7], v[2:3], v[4:5]
	s_waitcnt lgkmcnt(0)
	v_mul_f64 v[2:3], v[28:29], v[10:11]
	v_fma_f64 v[4:5], v[84:85], v[8:9], -v[2:3]
	v_mul_f64 v[2:3], v[84:85], v[10:11]
	v_fma_f64 v[2:3], v[28:29], v[8:9], v[2:3]
	s_clause 0x1
	global_load_dwordx4 v[6:9], v128, s[12:13] offset:16
	global_load_dwordx4 v[10:13], v128, s[12:13] offset:32
	s_waitcnt vmcnt(1)
	v_mul_f64 v[28:29], v[30:31], v[8:9]
	v_mul_f64 v[8:9], v[86:87], v[8:9]
	v_fma_f64 v[84:85], v[86:87], v[6:7], -v[28:29]
	v_fma_f64 v[86:87], v[30:31], v[6:7], v[8:9]
	s_clause 0x1
	global_load_dwordx4 v[6:9], v39, s[12:13] offset:32
	global_load_dwordx4 v[120:123], v39, s[12:13] offset:48
	ds_read2_b64 v[28:31], v176 offset0:56 offset1:116
	ds_read2_b64 v[124:127], v174 offset0:160 offset1:220
	s_waitcnt vmcnt(1) lgkmcnt(1)
	v_mul_f64 v[90:91], v[28:29], v[8:9]
	v_mul_f64 v[8:9], v[80:81], v[8:9]
	v_fma_f64 v[144:145], v[80:81], v[6:7], -v[90:91]
	v_fma_f64 v[6:7], v[28:29], v[6:7], v[8:9]
	v_mul_f64 v[8:9], v[30:31], v[12:13]
	v_fma_f64 v[28:29], v[82:83], v[10:11], -v[8:9]
	v_mul_f64 v[8:9], v[82:83], v[12:13]
	v_fma_f64 v[80:81], v[30:31], v[10:11], v[8:9]
	s_waitcnt vmcnt(0) lgkmcnt(0)
	v_mul_f64 v[8:9], v[124:125], v[122:123]
	v_fma_f64 v[10:11], v[76:77], v[120:121], -v[8:9]
	v_mul_f64 v[8:9], v[76:77], v[122:123]
	v_add_f64 v[231:232], v[4:5], -v[10:11]
	v_fma_f64 v[8:9], v[124:125], v[120:121], v[8:9]
	s_clause 0x1
	global_load_dwordx4 v[120:123], v128, s[12:13] offset:48
	global_load_dwordx4 v[128:131], v128, s[12:13] offset:64
	s_waitcnt vmcnt(1)
	v_mul_f64 v[12:13], v[126:127], v[122:123]
	v_fma_f64 v[76:77], v[78:79], v[120:121], -v[12:13]
	v_mul_f64 v[12:13], v[78:79], v[122:123]
	v_fma_f64 v[78:79], v[126:127], v[120:121], v[12:13]
	ds_read2_b64 v[120:123], v177 offset0:8 offset1:68
	s_waitcnt lgkmcnt(0)
	v_mul_f64 v[12:13], v[120:121], v[37:38]
	s_waitcnt vmcnt(0)
	v_mul_f64 v[30:31], v[122:123], v[130:131]
	v_fma_f64 v[188:189], v[72:73], v[35:36], -v[12:13]
	v_mul_f64 v[12:13], v[72:73], v[37:38]
	v_fma_f64 v[30:31], v[74:75], v[128:129], -v[30:31]
	v_fma_f64 v[12:13], v[120:121], v[35:36], v[12:13]
	v_mul_f64 v[35:36], v[74:75], v[130:131]
	v_fma_f64 v[72:73], v[122:123], v[128:129], v[35:36]
	v_mul_lo_u16 v35, 0xcd, v163
	ds_read2_b64 v[120:123], v172 offset0:96 offset1:156
	v_lshrrev_b16 v158, 11, v35
	v_mul_lo_u16 v35, 0xcd, v167
	v_lshrrev_b16 v152, 11, v35
	v_mul_lo_u16 v35, v158, 10
	v_sub_nc_u16 v159, v186, v35
	v_mul_lo_u16 v35, v152, 10
	v_sub_nc_u16 v153, v166, v35
	v_mul_u32_u24_sdwa v35, v159, v34 dst_sel:DWORD dst_unused:UNUSED_PAD src0_sel:BYTE_0 src1_sel:DWORD
	v_mul_u32_u24_sdwa v34, v153, v34 dst_sel:DWORD dst_unused:UNUSED_PAD src0_sel:BYTE_0 src1_sel:DWORD
	v_lshlrev_b32_e32 v82, 4, v35
	v_lshlrev_b32_e32 v83, 4, v34
	s_clause 0x1
	global_load_dwordx4 v[34:37], v82, s[12:13]
	global_load_dwordx4 v[140:143], v83, s[12:13] offset:64
	s_waitcnt vmcnt(1) lgkmcnt(0)
	v_mul_f64 v[38:39], v[122:123], v[36:37]
	v_mul_f64 v[36:37], v[70:71], v[36:37]
	v_fma_f64 v[134:135], v[70:71], v[34:35], -v[38:39]
	v_fma_f64 v[70:71], v[122:123], v[34:35], v[36:37]
	s_clause 0x1
	global_load_dwordx4 v[34:37], v83, s[12:13]
	global_load_dwordx4 v[124:127], v83, s[12:13] offset:16
	s_waitcnt vmcnt(1)
	v_mul_f64 v[38:39], v[120:121], v[36:37]
	v_mul_f64 v[36:37], v[68:69], v[36:37]
	v_fma_f64 v[138:139], v[68:69], v[34:35], -v[38:39]
	v_fma_f64 v[74:75], v[120:121], v[34:35], v[36:37]
	s_clause 0x1
	global_load_dwordx4 v[34:37], v82, s[12:13] offset:16
	global_load_dwordx4 v[128:131], v82, s[12:13] offset:32
	ds_read2_b64 v[120:123], v179 offset0:72 offset1:132
	s_waitcnt vmcnt(1) lgkmcnt(0)
	v_mul_f64 v[38:39], v[122:123], v[36:37]
	v_mul_f64 v[36:37], v[66:67], v[36:37]
	v_fma_f64 v[68:69], v[66:67], v[34:35], -v[38:39]
	v_fma_f64 v[66:67], v[122:123], v[34:35], v[36:37]
	v_mul_f64 v[34:35], v[120:121], v[126:127]
	v_fma_f64 v[122:123], v[64:65], v[124:125], -v[34:35]
	v_mul_f64 v[34:35], v[64:65], v[126:127]
	v_fma_f64 v[120:121], v[120:121], v[124:125], v[34:35]
	ds_read2_b64 v[34:37], v176 offset0:176 offset1:236
	s_waitcnt vmcnt(0) lgkmcnt(0)
	v_mul_f64 v[38:39], v[36:37], v[130:131]
	v_fma_f64 v[136:137], v[62:63], v[128:129], -v[38:39]
	v_mul_f64 v[38:39], v[62:63], v[130:131]
	v_fma_f64 v[64:65], v[36:37], v[128:129], v[38:39]
	s_clause 0x1
	global_load_dwordx4 v[36:39], v83, s[12:13] offset:32
	global_load_dwordx4 v[148:151], v83, s[12:13] offset:48
	s_waitcnt vmcnt(1)
	v_mul_f64 v[62:63], v[34:35], v[38:39]
	v_mul_f64 v[38:39], v[60:61], v[38:39]
	v_fma_f64 v[62:63], v[60:61], v[36:37], -v[62:63]
	v_fma_f64 v[126:127], v[34:35], v[36:37], v[38:39]
	s_clause 0x1
	global_load_dwordx4 v[34:37], v82, s[12:13] offset:48
	global_load_dwordx4 v[154:157], v82, s[12:13] offset:64
	ds_read2_b64 v[128:131], v184 offset0:24 offset1:84
	v_add_f64 v[60:61], v[48:49], v[4:5]
	s_waitcnt vmcnt(1) lgkmcnt(0)
	v_mul_f64 v[38:39], v[130:131], v[36:37]
	v_mul_f64 v[36:37], v[58:59], v[36:37]
	v_fma_f64 v[82:83], v[58:59], v[34:35], -v[38:39]
	v_fma_f64 v[90:91], v[130:131], v[34:35], v[36:37]
	v_mul_f64 v[34:35], v[128:129], v[150:151]
	v_fma_f64 v[130:131], v[56:57], v[148:149], -v[34:35]
	v_mul_f64 v[34:35], v[56:57], v[150:151]
	v_fma_f64 v[128:129], v[128:129], v[148:149], v[34:35]
	ds_read2_b64 v[34:37], v177 offset0:128 offset1:188
	v_add_f64 v[148:149], v[60:61], v[10:11]
	v_add_f64 v[60:61], v[6:7], v[12:13]
	s_waitcnt vmcnt(0) lgkmcnt(0)
	v_mul_f64 v[38:39], v[36:37], v[156:157]
	v_fma_f64 v[150:151], v[60:61], -0.5, v[0:1]
	v_add_f64 v[60:61], v[4:5], v[10:11]
	v_add_f64 v[0:1], v[0:1], v[6:7]
	v_fma_f64 v[56:57], v[54:55], v[154:155], -v[38:39]
	v_mul_f64 v[38:39], v[54:55], v[156:157]
	v_add_f64 v[156:157], v[6:7], -v[12:13]
	v_add_f64 v[235:236], v[0:1], v[12:13]
	v_fma_f64 v[124:125], v[36:37], v[154:155], v[38:39]
	v_mul_f64 v[36:37], v[34:35], v[142:143]
	v_fma_f64 v[154:155], v[60:61], -0.5, v[48:49]
	v_fma_f64 v[58:59], v[52:53], v[140:141], -v[36:37]
	v_mul_f64 v[36:37], v[52:53], v[142:143]
	v_add_f64 v[142:143], v[144:145], -v[188:189]
	v_fma_f64 v[132:133], v[34:35], v[140:141], v[36:37]
	v_add_f64 v[36:37], v[144:145], v[188:189]
	v_add_f64 v[34:35], v[160:161], v[144:145]
	v_fma_f64 v[48:49], v[142:143], s[4:5], v[150:151]
	v_fma_f64 v[142:143], v[142:143], s[0:1], v[150:151]
	v_fma_f64 v[140:141], v[36:37], -0.5, v[160:161]
	v_add_f64 v[144:145], v[34:35], v[188:189]
	v_add_f64 v[189:190], v[2:3], -v[8:9]
	v_mul_f64 v[160:161], v[48:49], s[0:1]
	v_add3_u32 v188, 0, v33, v32
	ds_read2_b64 v[52:55], v170 offset1:60
	ds_read2_b64 v[36:39], v170 offset0:120 offset1:180
	ds_read2_b64 v[32:35], v175 offset0:112 offset1:172
	s_waitcnt lgkmcnt(0)
	s_barrier
	buffer_gl0_inv
	v_fma_f64 v[60:61], v[156:157], s[0:1], v[140:141]
	v_fma_f64 v[140:141], v[156:157], s[4:5], v[140:141]
	v_add_f64 v[194:195], v[148:149], v[144:145]
	v_add_f64 v[144:145], v[148:149], -v[144:145]
	v_fma_f64 v[192:193], v[189:190], s[0:1], v[154:155]
	v_fma_f64 v[154:155], v[189:190], s[4:5], v[154:155]
	v_add_f64 v[4:5], v[52:53], v[2:3]
	v_add_f64 v[2:3], v[2:3], v[8:9]
	v_fma_f64 v[160:161], v[60:61], 0.5, v[160:161]
	v_mul_f64 v[148:149], v[140:141], -0.5
	v_mul_f64 v[0:1], v[60:61], s[4:5]
	v_add_f64 v[233:234], v[4:5], v[8:9]
	v_fma_f64 v[52:53], v[2:3], -0.5, v[52:53]
	v_add_f64 v[196:197], v[192:193], v[160:161]
	v_fma_f64 v[148:149], v[142:143], s[0:1], v[148:149]
	v_mul_f64 v[142:143], v[142:143], -0.5
	v_fma_f64 v[237:238], v[48:49], 0.5, v[0:1]
	v_add_f64 v[241:242], v[233:234], v[235:236]
	v_fma_f64 v[239:240], v[231:232], s[4:5], v[52:53]
	v_fma_f64 v[52:53], v[231:232], s[0:1], v[52:53]
	ds_write2_b64 v188, v[194:195], v[196:197] offset1:10
	v_add_f64 v[150:151], v[154:155], v[148:149]
	v_add_f64 v[148:149], v[154:155], -v[148:149]
	v_fma_f64 v[140:141], v[140:141], s[4:5], v[142:143]
	v_add_f64 v[142:143], v[233:234], -v[235:236]
	v_add_f64 v[243:244], v[239:240], v[237:238]
	ds_write2_b64 v188, v[150:151], v[144:145] offset0:20 offset1:30
	v_add_f64 v[144:145], v[192:193], -v[160:161]
	v_add_f64 v[160:161], v[86:87], -v[78:79]
	v_add_f64 v[231:232], v[52:53], v[140:141]
	v_add_f64 v[52:53], v[52:53], -v[140:141]
	ds_write2_b64 v188, v[144:145], v[148:149] offset0:40 offset1:50
	v_add_f64 v[144:145], v[84:85], v[76:77]
	v_add_f64 v[148:149], v[28:29], v[30:31]
	v_fma_f64 v[150:151], v[144:145], -0.5, v[50:51]
	v_add_f64 v[144:145], v[26:27], v[28:29]
	v_add_f64 v[28:29], v[28:29], -v[30:31]
	v_add_f64 v[50:51], v[50:51], v[84:85]
	v_fma_f64 v[26:27], v[148:149], -0.5, v[26:27]
	v_add_f64 v[148:149], v[80:81], -v[72:73]
	v_fma_f64 v[192:193], v[160:161], s[0:1], v[150:151]
	v_add_f64 v[30:31], v[144:145], v[30:31]
	v_mul_u32_u24_sdwa v144, v146, v198 dst_sel:DWORD dst_unused:UNUSED_PAD src0_sel:WORD_0 src1_sel:DWORD
	v_lshlrev_b32_sdwa v145, v191, v147 dst_sel:DWORD dst_unused:UNUSED_PAD src0_sel:DWORD src1_sel:BYTE_0
	v_add_f64 v[50:51], v[50:51], v[76:77]
	v_fma_f64 v[146:147], v[148:149], s[0:1], v[26:27]
	v_fma_f64 v[148:149], v[148:149], s[4:5], v[26:27]
	;; [unrolled: 1-line block ×3, first 2 shown]
	v_add3_u32 v189, 0, v144, v145
	v_add_f64 v[144:145], v[80:81], v[72:73]
	v_add_f64 v[76:77], v[84:85], -v[76:77]
	v_add_f64 v[194:195], v[50:51], v[30:31]
	v_fma_f64 v[154:155], v[144:145], -0.5, v[88:89]
	v_fma_f64 v[144:145], v[28:29], s[4:5], v[154:155]
	v_fma_f64 v[150:151], v[28:29], s[0:1], v[154:155]
	v_add_f64 v[28:29], v[50:51], -v[30:31]
	v_mul_f64 v[30:31], v[148:149], -0.5
	v_mul_f64 v[156:157], v[144:145], s[0:1]
	v_fma_f64 v[30:31], v[150:151], s[0:1], v[30:31]
	v_fma_f64 v[156:157], v[146:147], 0.5, v[156:157]
	v_add_f64 v[50:51], v[26:27], v[30:31]
	v_add_f64 v[26:27], v[26:27], -v[30:31]
	v_add_f64 v[30:31], v[62:63], -v[58:59]
	v_add_f64 v[196:197], v[192:193], v[156:157]
	ds_write2_b64 v189, v[50:51], v[28:29] offset0:20 offset1:30
	v_add_f64 v[28:29], v[192:193], -v[156:157]
	v_mul_u32_u24_sdwa v50, v152, v198 dst_sel:DWORD dst_unused:UNUSED_PAD src0_sel:WORD_0 src1_sel:DWORD
	v_lshlrev_b32_sdwa v51, v191, v153 dst_sel:DWORD dst_unused:UNUSED_PAD src0_sel:DWORD src1_sel:BYTE_0
	v_add_f64 v[156:157], v[120:121], -v[128:129]
	v_add3_u32 v190, 0, v50, v51
	v_add_f64 v[50:51], v[44:45], v[122:123]
	ds_write2_b64 v189, v[194:195], v[196:197] offset1:10
	ds_write2_b64 v189, v[28:29], v[26:27] offset0:40 offset1:50
	v_add_f64 v[26:27], v[138:139], v[62:63]
	v_add_f64 v[28:29], v[62:63], v[58:59]
	;; [unrolled: 1-line block ×6, first 2 shown]
	v_fma_f64 v[28:29], v[28:29], -0.5, v[138:139]
	v_fma_f64 v[44:45], v[62:63], -0.5, v[44:45]
	v_add_f64 v[62:63], v[126:127], -v[132:133]
	v_fma_f64 v[58:59], v[58:59], -0.5, v[74:75]
	v_fma_f64 v[192:193], v[156:157], s[0:1], v[44:45]
	v_fma_f64 v[154:155], v[62:63], s[0:1], v[28:29]
	;; [unrolled: 1-line block ×3, first 2 shown]
	v_mul_f64 v[152:153], v[138:139], s[0:1]
	v_fma_f64 v[160:161], v[154:155], 0.5, v[152:153]
	v_add_f64 v[152:153], v[50:51], v[26:27]
	v_add_f64 v[26:27], v[50:51], -v[26:27]
	v_mul_u32_u24_sdwa v50, v158, v198 dst_sel:DWORD dst_unused:UNUSED_PAD src0_sel:WORD_0 src1_sel:DWORD
	v_lshlrev_b32_sdwa v51, v191, v159 dst_sel:DWORD dst_unused:UNUSED_PAD src0_sel:DWORD src1_sel:BYTE_0
	v_add_f64 v[194:195], v[192:193], v[160:161]
	ds_write2_b64 v190, v[152:153], v[194:195] offset1:10
	v_fma_f64 v[152:153], v[62:63], s[4:5], v[28:29]
	v_fma_f64 v[28:29], v[156:157], s[4:5], v[44:45]
	;; [unrolled: 1-line block ×3, first 2 shown]
	v_add_f64 v[62:63], v[66:67], -v[90:91]
	v_mul_f64 v[30:31], v[152:153], -0.5
	v_fma_f64 v[30:31], v[156:157], s[0:1], v[30:31]
	v_add_f64 v[44:45], v[28:29], v[30:31]
	v_add_f64 v[28:29], v[28:29], -v[30:31]
	v_add_f64 v[30:31], v[134:135], v[136:137]
	ds_write2_b64 v190, v[44:45], v[26:27] offset0:20 offset1:30
	v_add_f64 v[26:27], v[192:193], -v[160:161]
	v_add3_u32 v192, 0, v50, v51
	v_add_f64 v[50:51], v[64:65], v[124:125]
	v_add_f64 v[44:45], v[136:137], v[56:57]
	v_add_f64 v[30:31], v[30:31], v[56:57]
	ds_write2_b64 v190, v[26:27], v[28:29] offset0:40 offset1:50
	v_add_f64 v[26:27], v[68:69], v[82:83]
	v_add_f64 v[28:29], v[46:47], v[68:69]
	v_fma_f64 v[50:51], v[50:51], -0.5, v[70:71]
	v_fma_f64 v[44:45], v[44:45], -0.5, v[134:135]
	;; [unrolled: 1-line block ×3, first 2 shown]
	v_add_f64 v[46:47], v[136:137], -v[56:57]
	v_add_f64 v[56:57], v[64:65], -v[124:125]
	v_add_f64 v[28:29], v[28:29], v[82:83]
	v_fma_f64 v[193:194], v[62:63], s[0:1], v[26:27]
	v_fma_f64 v[134:135], v[46:47], s[4:5], v[50:51]
	;; [unrolled: 1-line block ×3, first 2 shown]
	v_add_f64 v[158:159], v[28:29], v[30:31]
	v_add_f64 v[28:29], v[28:29], -v[30:31]
	v_fma_f64 v[26:27], v[62:63], s[4:5], v[26:27]
	v_mul_f64 v[58:59], v[134:135], s[0:1]
	v_fma_f64 v[58:59], v[136:137], 0.5, v[58:59]
	v_add_f64 v[160:161], v[193:194], v[58:59]
	ds_write2_b64 v192, v[158:159], v[160:161] offset1:10
	v_fma_f64 v[158:159], v[56:57], s[4:5], v[44:45]
	v_fma_f64 v[160:161], v[46:47], s[0:1], v[50:51]
	v_add_f64 v[46:47], v[114:115], -v[96:97]
	v_mul_f64 v[30:31], v[158:159], -0.5
	v_fma_f64 v[30:31], v[160:161], s[0:1], v[30:31]
	v_add_f64 v[44:45], v[26:27], v[30:31]
	v_add_f64 v[26:27], v[26:27], -v[30:31]
	v_add_f64 v[30:31], v[112:113], v[102:103]
	ds_write2_b64 v192, v[44:45], v[28:29] offset0:20 offset1:30
	v_add_f64 v[28:29], v[193:194], -v[58:59]
	v_fma_f64 v[30:31], v[30:31], -0.5, v[40:41]
	ds_write2_b64 v192, v[28:29], v[26:27] offset0:40 offset1:50
	v_add_f64 v[26:27], v[18:19], v[20:21]
	v_add_f64 v[28:29], v[20:21], v[24:25]
	v_add_f64 v[20:21], v[20:21], -v[24:25]
	v_fma_f64 v[50:51], v[46:47], s[0:1], v[30:31]
	v_add_f64 v[24:25], v[26:27], v[24:25]
	v_mul_u32_u24_e32 v26, 0x1e0, v169
	v_lshlrev_b32_sdwa v27, v191, v187 dst_sel:DWORD dst_unused:UNUSED_PAD src0_sel:DWORD src1_sel:WORD_0
	v_fma_f64 v[18:19], v[28:29], -0.5, v[18:19]
	v_add_f64 v[28:29], v[116:117], v[92:93]
	v_add3_u32 v169, 0, v26, v27
	v_add_f64 v[26:27], v[40:41], v[112:113]
	v_add_f64 v[40:41], v[116:117], -v[92:93]
	v_fma_f64 v[28:29], v[28:29], -0.5, v[108:109]
	v_add_f64 v[26:27], v[26:27], v[102:103]
	v_fma_f64 v[219:220], v[40:41], s[4:5], v[18:19]
	v_fma_f64 v[217:218], v[40:41], s[0:1], v[18:19]
	;; [unrolled: 1-line block ×3, first 2 shown]
	v_add_f64 v[30:31], v[106:107], -v[98:99]
	v_fma_f64 v[209:210], v[20:21], s[4:5], v[28:29]
	v_fma_f64 v[221:222], v[20:21], s[0:1], v[28:29]
	v_add_f64 v[56:57], v[26:27], v[24:25]
	v_add_f64 v[20:21], v[26:27], -v[24:25]
	v_mul_f64 v[24:25], v[219:220], -0.5
	v_mul_f64 v[44:45], v[209:210], s[0:1]
	v_fma_f64 v[24:25], v[221:222], s[0:1], v[24:25]
	v_fma_f64 v[44:45], v[217:218], 0.5, v[44:45]
	v_add_f64 v[26:27], v[18:19], v[24:25]
	v_add_f64 v[18:19], v[18:19], -v[24:25]
	v_add_f64 v[24:25], v[14:15], v[16:17]
	v_add_f64 v[58:59], v[50:51], v[44:45]
	ds_write2_b64 v169, v[26:27], v[20:21] offset0:20 offset1:30
	v_add_f64 v[20:21], v[50:51], -v[44:45]
	v_add_f64 v[26:27], v[16:17], v[22:23]
	v_add_f64 v[16:17], v[16:17], -v[22:23]
	v_add_f64 v[22:23], v[24:25], v[22:23]
	v_lshlrev_b32_sdwa v24, v191, v168 dst_sel:DWORD dst_unused:UNUSED_PAD src0_sel:DWORD src1_sel:WORD_0
	v_mul_u32_u24_e32 v25, 0x1e0, v165
	v_add3_u32 v165, 0, v25, v24
	v_add_f64 v[24:25], v[100:101], v[94:95]
	ds_write2_b64 v169, v[56:57], v[58:59] offset1:10
	ds_write2_b64 v169, v[20:21], v[18:19] offset0:40 offset1:50
	v_add_f64 v[18:19], v[104:105], v[118:119]
	v_fma_f64 v[14:15], v[26:27], -0.5, v[14:15]
	v_add_f64 v[26:27], v[100:101], -v[94:95]
	v_add_f64 v[20:21], v[42:43], v[104:105]
	v_fma_f64 v[24:25], v[24:25], -0.5, v[110:111]
	v_fma_f64 v[18:19], v[18:19], -0.5, v[42:43]
	v_fma_f64 v[227:228], v[26:27], s[4:5], v[14:15]
	v_fma_f64 v[225:226], v[26:27], s[0:1], v[14:15]
	v_add_f64 v[20:21], v[20:21], v[118:119]
	v_fma_f64 v[223:224], v[16:17], s[4:5], v[24:25]
	v_fma_f64 v[229:230], v[16:17], s[0:1], v[24:25]
	;; [unrolled: 1-line block ×4, first 2 shown]
	v_mul_f64 v[18:19], v[227:228], -0.5
	v_add_f64 v[42:43], v[20:21], v[22:23]
	v_add_f64 v[16:17], v[20:21], -v[22:23]
	v_mul_f64 v[28:29], v[223:224], s[0:1]
	v_fma_f64 v[18:19], v[229:230], s[0:1], v[18:19]
	v_fma_f64 v[28:29], v[225:226], 0.5, v[28:29]
	v_add_f64 v[20:21], v[14:15], v[18:19]
	v_add_f64 v[14:15], v[14:15], -v[18:19]
	v_add_f64 v[44:45], v[40:41], v[28:29]
	ds_write2_b64 v165, v[20:21], v[16:17] offset0:20 offset1:30
	v_add_f64 v[16:17], v[40:41], -v[28:29]
	ds_write2_b64 v165, v[42:43], v[44:45] offset1:10
	ds_write2_b64 v165, v[16:17], v[14:15] offset0:40 offset1:50
	s_waitcnt lgkmcnt(0)
	s_barrier
	buffer_gl0_inv
	ds_read2_b64 v[8:11], v170 offset1:60
	ds_read2_b64 v[193:196], v171 offset0:104 offset1:164
	ds_read2_b64 v[197:200], v178 offset0:80 offset1:140
	;; [unrolled: 1-line block ×17, first 2 shown]
	s_waitcnt lgkmcnt(0)
	s_barrier
	buffer_gl0_inv
	ds_write2_b64 v188, v[231:232], v[142:143] offset0:20 offset1:30
	v_add_f64 v[142:143], v[239:240], -v[237:238]
	ds_write2_b64 v188, v[241:242], v[243:244] offset1:10
	ds_write2_b64 v188, v[142:143], v[52:53] offset0:40 offset1:50
	v_add_f64 v[52:53], v[86:87], v[78:79]
	v_add_f64 v[86:87], v[54:55], v[86:87]
	v_fma_f64 v[52:53], v[52:53], -0.5, v[54:55]
	v_add_f64 v[54:55], v[88:89], v[80:81]
	v_add_f64 v[78:79], v[86:87], v[78:79]
	v_fma_f64 v[80:81], v[76:77], s[4:5], v[52:53]
	v_fma_f64 v[52:53], v[76:77], s[0:1], v[52:53]
	v_mul_f64 v[76:77], v[150:151], -0.5
	v_add_f64 v[54:55], v[54:55], v[72:73]
	v_mul_f64 v[72:73], v[146:147], s[4:5]
	v_fma_f64 v[76:77], v[148:149], s[4:5], v[76:77]
	v_add_f64 v[84:85], v[78:79], v[54:55]
	v_fma_f64 v[72:73], v[144:145], 0.5, v[72:73]
	v_add_f64 v[54:55], v[78:79], -v[54:55]
	v_add_f64 v[78:79], v[52:53], v[76:77]
	v_add_f64 v[52:53], v[52:53], -v[76:77]
	v_add_f64 v[86:87], v[80:81], v[72:73]
	v_mul_f64 v[76:77], v[154:155], s[4:5]
	ds_write2_b64 v189, v[78:79], v[54:55] offset0:20 offset1:30
	v_add_f64 v[54:55], v[80:81], -v[72:73]
	v_add_f64 v[72:73], v[36:37], v[120:121]
	v_fma_f64 v[76:77], v[138:139], 0.5, v[76:77]
	ds_write2_b64 v189, v[84:85], v[86:87] offset1:10
	ds_write2_b64 v189, v[54:55], v[52:53] offset0:40 offset1:50
	v_add_f64 v[54:55], v[74:75], v[126:127]
	v_add_f64 v[74:75], v[120:121], v[128:129]
	v_add_f64 v[52:53], v[122:123], -v[130:131]
	v_add_f64 v[72:73], v[72:73], v[128:129]
	v_add_f64 v[54:55], v[54:55], v[132:133]
	v_fma_f64 v[36:37], v[74:75], -0.5, v[36:37]
	v_add_f64 v[78:79], v[72:73], v[54:55]
	v_fma_f64 v[74:75], v[52:53], s[4:5], v[36:37]
	v_fma_f64 v[36:37], v[52:53], s[0:1], v[36:37]
	v_mul_f64 v[52:53], v[156:157], -0.5
	v_add_f64 v[54:55], v[72:73], -v[54:55]
	v_add_f64 v[80:81], v[74:75], v[76:77]
	v_fma_f64 v[52:53], v[152:153], s[4:5], v[52:53]
	ds_write2_b64 v190, v[78:79], v[80:81] offset1:10
	v_add_f64 v[72:73], v[36:37], v[52:53]
	v_add_f64 v[36:37], v[36:37], -v[52:53]
	v_add_f64 v[52:53], v[38:39], v[66:67]
	ds_write2_b64 v190, v[72:73], v[54:55] offset0:20 offset1:30
	v_add_f64 v[54:55], v[74:75], -v[76:77]
	v_add_f64 v[52:53], v[52:53], v[90:91]
	ds_write2_b64 v190, v[54:55], v[36:37] offset0:40 offset1:50
	v_add_f64 v[36:37], v[66:67], v[90:91]
	v_add_f64 v[54:55], v[68:69], -v[82:83]
	v_fma_f64 v[36:37], v[36:37], -0.5, v[38:39]
	v_add_f64 v[38:39], v[70:71], v[64:65]
	v_mul_f64 v[64:65], v[136:137], s[4:5]
	v_fma_f64 v[66:67], v[54:55], s[4:5], v[36:37]
	v_fma_f64 v[36:37], v[54:55], s[0:1], v[36:37]
	v_mul_f64 v[54:55], v[160:161], -0.5
	v_add_f64 v[38:39], v[38:39], v[124:125]
	v_fma_f64 v[64:65], v[134:135], 0.5, v[64:65]
	v_fma_f64 v[54:55], v[158:159], s[4:5], v[54:55]
	v_add_f64 v[68:69], v[52:53], v[38:39]
	v_add_f64 v[38:39], v[52:53], -v[38:39]
	v_add_f64 v[70:71], v[66:67], v[64:65]
	v_add_f64 v[52:53], v[36:37], v[54:55]
	v_add_f64 v[36:37], v[36:37], -v[54:55]
	v_add_f64 v[54:55], v[112:113], -v[102:103]
	ds_write2_b64 v192, v[68:69], v[70:71] offset1:10
	ds_write2_b64 v192, v[52:53], v[38:39] offset0:20 offset1:30
	v_add_f64 v[38:39], v[66:67], -v[64:65]
	v_add_f64 v[52:53], v[114:115], v[96:97]
	v_mul_f64 v[64:65], v[217:218], s[4:5]
	ds_write2_b64 v192, v[38:39], v[36:37] offset0:40 offset1:50
	v_add_f64 v[38:39], v[32:33], v[114:115]
	v_fma_f64 v[32:33], v[52:53], -0.5, v[32:33]
	v_add_f64 v[36:37], v[108:109], v[116:117]
	v_fma_f64 v[64:65], v[209:210], 0.5, v[64:65]
	v_add_f64 v[38:39], v[38:39], v[96:97]
	v_fma_f64 v[52:53], v[54:55], s[4:5], v[32:33]
	v_fma_f64 v[32:33], v[54:55], s[0:1], v[32:33]
	v_mul_f64 v[54:55], v[221:222], -0.5
	v_add_f64 v[36:37], v[36:37], v[92:93]
	v_add_f64 v[68:69], v[52:53], v[64:65]
	v_fma_f64 v[54:55], v[219:220], s[4:5], v[54:55]
	v_add_f64 v[66:67], v[38:39], v[36:37]
	v_add_f64 v[36:37], v[38:39], -v[36:37]
	v_add_f64 v[38:39], v[32:33], v[54:55]
	v_add_f64 v[32:33], v[32:33], -v[54:55]
	ds_write2_b64 v169, v[66:67], v[68:69] offset1:10
	ds_write2_b64 v169, v[38:39], v[36:37] offset0:20 offset1:30
	v_add_f64 v[36:37], v[52:53], -v[64:65]
	v_add_f64 v[38:39], v[104:105], -v[118:119]
	v_mul_f64 v[52:53], v[225:226], s[4:5]
	ds_write2_b64 v169, v[36:37], v[32:33] offset0:40 offset1:50
	v_add_f64 v[32:33], v[106:107], v[98:99]
	v_add_f64 v[36:37], v[34:35], v[106:107]
	v_fma_f64 v[52:53], v[223:224], 0.5, v[52:53]
	v_fma_f64 v[32:33], v[32:33], -0.5, v[34:35]
	v_add_f64 v[34:35], v[110:111], v[100:101]
	v_add_f64 v[36:37], v[36:37], v[98:99]
	v_fma_f64 v[54:55], v[38:39], s[4:5], v[32:33]
	v_fma_f64 v[32:33], v[38:39], s[0:1], v[32:33]
	v_mul_f64 v[38:39], v[229:230], -0.5
	v_add_f64 v[34:35], v[34:35], v[94:95]
	v_add_f64 v[66:67], v[54:55], v[52:53]
	v_fma_f64 v[38:39], v[227:228], s[4:5], v[38:39]
	v_add_f64 v[64:65], v[36:37], v[34:35]
	v_add_f64 v[34:35], v[36:37], -v[34:35]
	v_add_f64 v[36:37], v[32:33], v[38:39]
	v_add_f64 v[32:33], v[32:33], -v[38:39]
	ds_write2_b64 v165, v[64:65], v[66:67] offset1:10
	ds_write2_b64 v165, v[36:37], v[34:35] offset0:20 offset1:30
	v_add_f64 v[34:35], v[54:55], -v[52:53]
	ds_write2_b64 v165, v[34:35], v[32:33] offset0:40 offset1:50
	v_mul_u32_u24_e32 v32, 5, v212
	s_waitcnt lgkmcnt(0)
	s_barrier
	buffer_gl0_inv
	v_lshlrev_b32_e32 v165, 4, v32
	s_clause 0x1
	global_load_dwordx4 v[32:35], v165, s[12:13] offset:800
	global_load_dwordx4 v[52:55], v165, s[12:13] offset:816
	ds_read2_b64 v[66:69], v171 offset0:104 offset1:164
	s_waitcnt vmcnt(1) lgkmcnt(0)
	v_mul_f64 v[36:37], v[66:67], v[34:35]
	v_mul_f64 v[38:39], v[193:194], v[34:35]
	v_fma_f64 v[64:65], v[193:194], v[32:33], -v[36:37]
	v_mul_f64 v[36:37], v[68:69], v[34:35]
	v_mul_f64 v[34:35], v[195:196], v[34:35]
	v_fma_f64 v[84:85], v[66:67], v[32:33], v[38:39]
	s_waitcnt vmcnt(0)
	v_mul_f64 v[38:39], v[199:200], v[54:55]
	v_fma_f64 v[36:37], v[195:196], v[32:33], -v[36:37]
	v_fma_f64 v[88:89], v[68:69], v[32:33], v[34:35]
	ds_read2_b64 v[66:69], v178 offset0:80 offset1:140
	s_waitcnt lgkmcnt(0)
	v_mul_f64 v[34:35], v[68:69], v[54:55]
	v_mul_f64 v[32:33], v[66:67], v[54:55]
	v_fma_f64 v[94:95], v[68:69], v[52:53], v[38:39]
	v_fma_f64 v[90:91], v[199:200], v[52:53], -v[34:35]
	v_mul_f64 v[34:35], v[197:198], v[54:55]
	v_fma_f64 v[32:33], v[197:198], v[52:53], -v[32:33]
	v_fma_f64 v[86:87], v[66:67], v[52:53], v[34:35]
	s_clause 0x1
	global_load_dwordx4 v[52:55], v165, s[12:13] offset:832
	global_load_dwordx4 v[68:71], v165, s[12:13] offset:848
	ds_read2_b64 v[72:75], v176 offset0:56 offset1:116
	s_waitcnt vmcnt(1) lgkmcnt(0)
	v_mul_f64 v[34:35], v[72:73], v[54:55]
	v_fma_f64 v[66:67], v[201:202], v[52:53], -v[34:35]
	v_mul_f64 v[34:35], v[74:75], v[54:55]
	v_fma_f64 v[38:39], v[203:204], v[52:53], -v[34:35]
	v_mul_f64 v[34:35], v[201:202], v[54:55]
	v_mul_f64 v[54:55], v[203:204], v[54:55]
	v_fma_f64 v[92:93], v[72:73], v[52:53], v[34:35]
	v_fma_f64 v[98:99], v[74:75], v[52:53], v[54:55]
	ds_read2_b64 v[52:55], v174 offset0:160 offset1:220
	s_waitcnt vmcnt(0) lgkmcnt(0)
	v_mul_f64 v[72:73], v[54:55], v[70:71]
	v_mul_f64 v[34:35], v[52:53], v[70:71]
	v_fma_f64 v[100:101], v[207:208], v[68:69], -v[72:73]
	v_mul_f64 v[72:73], v[205:206], v[70:71]
	v_mul_f64 v[70:71], v[207:208], v[70:71]
	v_fma_f64 v[34:35], v[205:206], v[68:69], -v[34:35]
	v_fma_f64 v[96:97], v[52:53], v[68:69], v[72:73]
	v_mul_lo_u16 v52, 0x89, v167
	v_fma_f64 v[102:103], v[54:55], v[68:69], v[70:71]
	v_lshrrev_b16 v52, 13, v52
	v_mul_lo_u16 v52, v52, 60
	v_sub_nc_u16 v52, v166, v52
	v_and_b32_e32 v70, 0xff, v52
	v_mul_u32_u24_e32 v52, 5, v70
	v_lshlrev_b32_e32 v124, 4, v52
	s_clause 0x1
	global_load_dwordx4 v[71:74], v165, s[12:13] offset:864
	global_load_dwordx4 v[75:78], v124, s[12:13] offset:800
	ds_read2_b64 v[79:82], v177 offset0:8 offset1:68
	s_waitcnt vmcnt(1) lgkmcnt(0)
	v_mul_f64 v[52:53], v[79:80], v[73:74]
	v_fma_f64 v[68:69], v[213:214], v[71:72], -v[52:53]
	v_mul_f64 v[52:53], v[81:82], v[73:74]
	v_fma_f64 v[54:55], v[215:216], v[71:72], -v[52:53]
	v_mul_f64 v[52:53], v[213:214], v[73:74]
	v_mul_f64 v[73:74], v[215:216], v[73:74]
	v_fma_f64 v[106:107], v[79:80], v[71:72], v[52:53]
	v_fma_f64 v[108:109], v[81:82], v[71:72], v[73:74]
	ds_read2_b64 v[71:74], v172 offset0:96 offset1:156
	s_waitcnt vmcnt(0) lgkmcnt(0)
	v_mul_f64 v[52:53], v[71:72], v[77:78]
	v_fma_f64 v[52:53], v[60:61], v[75:76], -v[52:53]
	v_mul_f64 v[60:61], v[60:61], v[77:78]
	v_fma_f64 v[104:105], v[71:72], v[75:76], v[60:61]
	v_mul_lo_u16 v60, 0x89, v163
	v_lshrrev_b16 v60, 13, v60
	v_mul_lo_u16 v60, v60, 60
	v_sub_nc_u16 v60, v186, v60
	v_and_b32_e32 v71, 0xff, v60
	v_mul_u32_u24_e32 v60, 5, v71
	v_lshlrev_b32_e32 v134, 4, v60
	s_clause 0x1
	global_load_dwordx4 v[75:78], v134, s[12:13] offset:800
	global_load_dwordx4 v[79:82], v134, s[12:13] offset:816
	s_waitcnt vmcnt(1)
	v_mul_f64 v[60:61], v[73:74], v[77:78]
	v_fma_f64 v[60:61], v[62:63], v[75:76], -v[60:61]
	v_mul_f64 v[62:63], v[62:63], v[77:78]
	v_fma_f64 v[110:111], v[73:74], v[75:76], v[62:63]
	s_clause 0x1
	global_load_dwordx4 v[72:75], v124, s[12:13] offset:816
	global_load_dwordx4 v[120:123], v124, s[12:13] offset:832
	ds_read2_b64 v[112:115], v179 offset0:72 offset1:132
	s_waitcnt vmcnt(1) lgkmcnt(0)
	v_mul_f64 v[62:63], v[112:113], v[74:75]
	v_fma_f64 v[116:117], v[56:57], v[72:73], -v[62:63]
	v_mul_f64 v[56:57], v[56:57], v[74:75]
	v_fma_f64 v[118:119], v[112:113], v[72:73], v[56:57]
	v_mul_f64 v[56:57], v[114:115], v[81:82]
	ds_read2_b64 v[72:75], v176 offset0:176 offset1:236
	v_fma_f64 v[112:113], v[58:59], v[79:80], -v[56:57]
	v_mul_f64 v[56:57], v[58:59], v[81:82]
	v_fma_f64 v[114:115], v[114:115], v[79:80], v[56:57]
	s_clause 0x1
	global_load_dwordx4 v[76:79], v134, s[12:13] offset:832
	global_load_dwordx4 v[80:83], v134, s[12:13] offset:848
	s_waitcnt vmcnt(2) lgkmcnt(0)
	v_mul_f64 v[56:57], v[72:73], v[122:123]
	v_fma_f64 v[56:57], v[48:49], v[120:121], -v[56:57]
	v_mul_f64 v[48:49], v[48:49], v[122:123]
	v_fma_f64 v[122:123], v[72:73], v[120:121], v[48:49]
	s_waitcnt vmcnt(1)
	v_mul_f64 v[48:49], v[74:75], v[78:79]
	v_fma_f64 v[48:49], v[50:51], v[76:77], -v[48:49]
	v_mul_f64 v[50:51], v[50:51], v[78:79]
	v_fma_f64 v[120:121], v[74:75], v[76:77], v[50:51]
	s_clause 0x1
	global_load_dwordx4 v[72:75], v124, s[12:13] offset:848
	global_load_dwordx4 v[76:79], v124, s[12:13] offset:864
	ds_read2_b64 v[124:127], v184 offset0:24 offset1:84
	s_waitcnt vmcnt(1) lgkmcnt(0)
	v_mul_f64 v[50:51], v[124:125], v[74:75]
	v_fma_f64 v[128:129], v[44:45], v[72:73], -v[50:51]
	v_mul_f64 v[44:45], v[44:45], v[74:75]
	v_mov_b32_e32 v51, 0x8889
	v_fma_f64 v[130:131], v[124:125], v[72:73], v[44:45]
	v_mul_f64 v[44:45], v[126:127], v[82:83]
	ds_read2_b64 v[72:75], v177 offset0:128 offset1:188
	v_fma_f64 v[124:125], v[46:47], v[80:81], -v[44:45]
	v_mul_f64 v[44:45], v[46:47], v[82:83]
	v_fma_f64 v[126:127], v[126:127], v[80:81], v[44:45]
	s_waitcnt vmcnt(0) lgkmcnt(0)
	v_mul_f64 v[44:45], v[72:73], v[78:79]
	v_fma_f64 v[44:45], v[40:41], v[76:77], -v[44:45]
	v_mul_f64 v[40:41], v[40:41], v[78:79]
	v_fma_f64 v[132:133], v[72:73], v[76:77], v[40:41]
	v_mul_u32_u24_sdwa v40, v162, v51 dst_sel:DWORD dst_unused:UNUSED_PAD src0_sel:WORD_0 src1_sel:DWORD
	v_lshrrev_b32_e32 v40, 21, v40
	v_mul_lo_u16 v40, v40, 60
	v_sub_nc_u16 v40, v162, v40
	v_and_b32_e32 v50, 0xffff, v40
	v_mul_u32_u24_e32 v40, 5, v50
	v_lshlrev_b32_e32 v58, 4, v40
	s_clause 0x1
	global_load_dwordx4 v[76:79], v134, s[12:13] offset:864
	global_load_dwordx4 v[80:83], v58, s[12:13] offset:800
	s_waitcnt vmcnt(1)
	v_mul_f64 v[40:41], v[74:75], v[78:79]
	v_fma_f64 v[46:47], v[42:43], v[76:77], -v[40:41]
	v_mul_f64 v[40:41], v[42:43], v[78:79]
	v_fma_f64 v[136:137], v[74:75], v[76:77], v[40:41]
	ds_read2_b64 v[72:75], v173 offset0:88 offset1:148
	s_waitcnt vmcnt(0) lgkmcnt(0)
	v_mul_f64 v[40:41], v[72:73], v[82:83]
	v_fma_f64 v[40:41], v[28:29], v[80:81], -v[40:41]
	v_mul_f64 v[28:29], v[28:29], v[82:83]
	v_fma_f64 v[134:135], v[72:73], v[80:81], v[28:29]
	v_mul_u32_u24_sdwa v28, v164, v51 dst_sel:DWORD dst_unused:UNUSED_PAD src0_sel:WORD_0 src1_sel:DWORD
	v_lshrrev_b32_e32 v28, 21, v28
	v_mul_lo_u16 v28, v28, 60
	v_sub_nc_u16 v28, v164, v28
	v_and_b32_e32 v42, 0xffff, v28
	v_mul_u32_u24_e32 v28, 5, v42
	v_lshlrev_b32_e32 v43, 4, v28
	s_clause 0x1
	global_load_dwordx4 v[76:79], v43, s[12:13] offset:800
	global_load_dwordx4 v[80:83], v43, s[12:13] offset:816
	s_waitcnt vmcnt(1)
	v_mul_f64 v[28:29], v[74:75], v[78:79]
	v_fma_f64 v[28:29], v[30:31], v[76:77], -v[28:29]
	v_mul_f64 v[30:31], v[30:31], v[78:79]
	v_fma_f64 v[138:139], v[74:75], v[76:77], v[30:31]
	s_clause 0x1
	global_load_dwordx4 v[72:75], v58, s[12:13] offset:816
	global_load_dwordx4 v[76:79], v58, s[12:13] offset:832
	ds_read2_b64 v[140:143], v179 offset0:192 offset1:252
	s_waitcnt vmcnt(1) lgkmcnt(0)
	v_mul_f64 v[30:31], v[140:141], v[74:75]
	v_fma_f64 v[144:145], v[24:25], v[72:73], -v[30:31]
	v_mul_f64 v[24:25], v[24:25], v[74:75]
	v_add_f64 v[30:31], v[92:93], v[106:107]
	v_fma_f64 v[146:147], v[140:141], v[72:73], v[24:25]
	v_mul_f64 v[24:25], v[142:143], v[82:83]
	ds_read2_b64 v[72:75], v174 offset0:40 offset1:100
	v_fma_f64 v[30:31], v[30:31], -0.5, v[84:85]
	v_fma_f64 v[140:141], v[26:27], v[80:81], -v[24:25]
	v_mul_f64 v[24:25], v[26:27], v[82:83]
	v_add_f64 v[26:27], v[8:9], v[32:33]
	v_fma_f64 v[142:143], v[142:143], v[80:81], v[24:25]
	s_waitcnt vmcnt(0) lgkmcnt(0)
	v_mul_f64 v[24:25], v[72:73], v[78:79]
	v_add_f64 v[26:27], v[26:27], v[34:35]
	v_fma_f64 v[24:25], v[20:21], v[76:77], -v[24:25]
	v_mul_f64 v[20:21], v[20:21], v[78:79]
	v_fma_f64 v[150:151], v[72:73], v[76:77], v[20:21]
	s_clause 0x1
	global_load_dwordx4 v[76:79], v43, s[12:13] offset:832
	global_load_dwordx4 v[80:83], v43, s[12:13] offset:848
	s_waitcnt vmcnt(1)
	v_mul_f64 v[20:21], v[74:75], v[78:79]
	v_fma_f64 v[20:21], v[22:23], v[76:77], -v[20:21]
	v_mul_f64 v[22:23], v[22:23], v[78:79]
	v_fma_f64 v[148:149], v[74:75], v[76:77], v[22:23]
	s_clause 0x1
	global_load_dwordx4 v[72:75], v58, s[12:13] offset:848
	global_load_dwordx4 v[76:79], v58, s[12:13] offset:864
	ds_read2_b64 v[152:155], v184 offset0:144 offset1:204
	v_add_f64 v[58:59], v[32:33], v[34:35]
	v_fma_f64 v[8:9], v[58:59], -0.5, v[8:9]
	v_add_f64 v[58:59], v[92:93], -v[106:107]
	s_waitcnt vmcnt(1) lgkmcnt(0)
	v_mul_f64 v[22:23], v[152:153], v[74:75]
	v_fma_f64 v[156:157], v[16:17], v[72:73], -v[22:23]
	v_mul_f64 v[16:17], v[16:17], v[74:75]
	v_add_f64 v[22:23], v[66:67], v[68:69]
	v_fma_f64 v[158:159], v[152:153], v[72:73], v[16:17]
	v_mul_f64 v[16:17], v[154:155], v[82:83]
	ds_read2_b64 v[72:75], v185 offset0:120 offset1:180
	v_fma_f64 v[22:23], v[22:23], -0.5, v[64:65]
	v_fma_f64 v[152:153], v[18:19], v[80:81], -v[16:17]
	v_mul_f64 v[16:17], v[18:19], v[82:83]
	v_add_f64 v[18:19], v[66:67], -v[68:69]
	v_fma_f64 v[154:155], v[154:155], v[80:81], v[16:17]
	s_waitcnt vmcnt(0) lgkmcnt(0)
	v_mul_f64 v[16:17], v[72:73], v[78:79]
	v_fma_f64 v[62:63], v[18:19], s[4:5], v[30:31]
	v_fma_f64 v[18:19], v[18:19], s[0:1], v[30:31]
	v_fma_f64 v[16:17], v[12:13], v[76:77], -v[16:17]
	v_mul_f64 v[12:13], v[12:13], v[78:79]
	v_fma_f64 v[160:161], v[72:73], v[76:77], v[12:13]
	global_load_dwordx4 v[76:79], v43, s[12:13] offset:864
	s_waitcnt vmcnt(0)
	v_mul_f64 v[12:13], v[74:75], v[78:79]
	v_fma_f64 v[12:13], v[14:15], v[76:77], -v[12:13]
	v_mul_f64 v[14:15], v[14:15], v[78:79]
	v_fma_f64 v[162:163], v[74:75], v[76:77], v[14:15]
	v_add_f64 v[14:15], v[64:65], v[66:67]
	v_fma_f64 v[64:65], v[58:59], s[0:1], v[22:23]
	v_fma_f64 v[22:23], v[58:59], s[4:5], v[22:23]
	v_mul_f64 v[66:67], v[62:63], s[0:1]
	ds_read2_b64 v[80:83], v170 offset1:60
	ds_read2_b64 v[76:79], v170 offset0:120 offset1:180
	ds_read2_b64 v[72:75], v175 offset0:112 offset1:172
	s_waitcnt lgkmcnt(0)
	s_barrier
	buffer_gl0_inv
	v_add_f64 v[58:59], v[94:95], -v[102:103]
	v_add_f64 v[14:15], v[14:15], v[68:69]
	v_add_f64 v[68:69], v[86:87], -v[96:97]
	v_fma_f64 v[66:67], v[64:65], 0.5, v[66:67]
	v_add_f64 v[168:169], v[26:27], v[14:15]
	v_add_f64 v[14:15], v[26:27], -v[14:15]
	v_mul_f64 v[26:27], v[22:23], -0.5
	v_fma_f64 v[166:167], v[68:69], s[0:1], v[8:9]
	v_fma_f64 v[8:9], v[68:69], s[4:5], v[8:9]
	;; [unrolled: 1-line block ×3, first 2 shown]
	v_add_f64 v[186:187], v[166:167], v[66:67]
	v_add_f64 v[30:31], v[8:9], v[26:27]
	v_add_f64 v[8:9], v[8:9], -v[26:27]
	v_add_f64 v[26:27], v[38:39], v[54:55]
	ds_write2_b64 v170, v[168:169], v[186:187] offset1:60
	ds_write2_b64 v170, v[30:31], v[14:15] offset0:120 offset1:180
	v_add_f64 v[14:15], v[166:167], -v[66:67]
	v_fma_f64 v[26:27], v[26:27], -0.5, v[36:37]
	v_add_f64 v[30:31], v[38:39], -v[54:55]
	ds_write2_b64 v175, v[14:15], v[8:9] offset0:112 offset1:172
	v_add_f64 v[14:15], v[36:37], v[38:39]
	v_add_f64 v[36:37], v[98:99], v[108:109]
	;; [unrolled: 1-line block ×3, first 2 shown]
	v_add_f64 v[38:39], v[98:99], -v[108:109]
	v_add_f64 v[14:15], v[14:15], v[54:55]
	v_fma_f64 v[36:37], v[36:37], -0.5, v[88:89]
	v_fma_f64 v[8:9], v[8:9], -0.5, v[10:11]
	v_add_f64 v[10:11], v[10:11], v[90:91]
	v_fma_f64 v[168:169], v[38:39], s[0:1], v[26:27]
	v_add_f64 v[88:89], v[88:89], v[98:99]
	v_add_f64 v[98:99], v[82:83], v[94:95]
	;; [unrolled: 1-line block ×3, first 2 shown]
	v_add_f64 v[90:91], v[90:91], -v[100:101]
	v_fma_f64 v[166:167], v[30:31], s[4:5], v[36:37]
	v_fma_f64 v[66:67], v[58:59], s[0:1], v[8:9]
	v_add_f64 v[10:11], v[10:11], v[100:101]
	v_fma_f64 v[188:189], v[30:31], s[0:1], v[36:37]
	v_fma_f64 v[8:9], v[58:59], s[4:5], v[8:9]
	v_add_f64 v[36:37], v[116:117], v[128:129]
	v_add_f64 v[30:31], v[122:123], v[132:133]
	v_fma_f64 v[82:83], v[94:95], -0.5, v[82:83]
	v_add_f64 v[98:99], v[98:99], v[102:103]
	v_add_f64 v[88:89], v[88:89], v[108:109]
	v_mul_f64 v[100:101], v[168:169], s[4:5]
	v_mul_f64 v[54:55], v[166:167], s[0:1]
	v_add_f64 v[68:69], v[10:11], v[14:15]
	v_add_f64 v[10:11], v[10:11], -v[14:15]
	v_fma_f64 v[30:31], v[30:31], -0.5, v[104:105]
	v_fma_f64 v[94:95], v[90:91], s[4:5], v[82:83]
	v_fma_f64 v[82:83], v[90:91], s[0:1], v[82:83]
	v_mul_f64 v[90:91], v[188:189], -0.5
	v_fma_f64 v[100:101], v[166:167], 0.5, v[100:101]
	v_add_f64 v[102:103], v[98:99], v[88:89]
	v_add_f64 v[88:89], v[98:99], -v[88:89]
	v_fma_f64 v[54:55], v[168:169], 0.5, v[54:55]
	v_add_f64 v[108:109], v[94:95], v[100:101]
	v_add_f64 v[186:187], v[66:67], v[54:55]
	ds_write2_b64 v171, v[68:69], v[186:187] offset0:104 offset1:164
	v_fma_f64 v[186:187], v[38:39], s[4:5], v[26:27]
	v_mul_f64 v[14:15], v[186:187], -0.5
	v_fma_f64 v[90:91], v[186:187], s[4:5], v[90:91]
	v_fma_f64 v[14:15], v[188:189], s[0:1], v[14:15]
	v_add_f64 v[98:99], v[82:83], v[90:91]
	v_add_f64 v[82:83], v[82:83], -v[90:91]
	v_add_f64 v[26:27], v[8:9], v[14:15]
	v_add_f64 v[8:9], v[8:9], -v[14:15]
	v_add_f64 v[14:15], v[56:57], -v[44:45]
	ds_write2_b64 v172, v[26:27], v[10:11] offset0:96 offset1:156
	v_add_f64 v[10:11], v[66:67], -v[54:55]
	v_add_f64 v[26:27], v[4:5], v[116:117]
	v_fma_f64 v[4:5], v[36:37], -0.5, v[4:5]
	v_add_f64 v[36:37], v[122:123], -v[132:133]
	v_fma_f64 v[190:191], v[14:15], s[4:5], v[30:31]
	v_fma_f64 v[196:197], v[14:15], s[0:1], v[30:31]
	v_add_f64 v[30:31], v[120:121], -v[136:137]
	ds_write2_b64 v173, v[10:11], v[8:9] offset0:88 offset1:148
	v_add_f64 v[10:11], v[56:57], v[44:45]
	v_add_f64 v[8:9], v[52:53], v[56:57]
	;; [unrolled: 1-line block ×3, first 2 shown]
	v_mul_f64 v[38:39], v[190:191], s[0:1]
	v_fma_f64 v[10:11], v[10:11], -0.5, v[52:53]
	v_add_f64 v[8:9], v[8:9], v[44:45]
	v_add_f64 v[43:44], v[118:119], -v[130:131]
	v_lshl_add_u32 v45, v70, 3, 0
	v_add_nc_u32_e32 v232, 0x1800, v45
	v_add_nc_u32_e32 v231, 0x1400, v45
	v_fma_f64 v[194:195], v[36:37], s[4:5], v[10:11]
	v_fma_f64 v[192:193], v[36:37], s[0:1], v[10:11]
	;; [unrolled: 1-line block ×4, first 2 shown]
	v_add_f64 v[53:54], v[26:27], v[8:9]
	v_add_f64 v[8:9], v[26:27], -v[8:9]
	v_add_f64 v[26:27], v[120:121], v[136:137]
	v_mul_f64 v[10:11], v[194:195], -0.5
	v_fma_f64 v[38:39], v[192:193], 0.5, v[38:39]
	v_fma_f64 v[26:27], v[26:27], -0.5, v[110:111]
	v_fma_f64 v[10:11], v[196:197], s[0:1], v[10:11]
	v_add_f64 v[55:56], v[51:52], v[38:39]
	v_add_f64 v[14:15], v[4:5], v[10:11]
	v_add_f64 v[4:5], v[4:5], -v[10:11]
	v_add_f64 v[10:11], v[48:49], v[46:47]
	ds_write2_b64 v231, v[53:54], v[55:56] offset0:80 offset1:140
	ds_write2_b64 v232, v[14:15], v[8:9] offset0:72 offset1:132
	v_add_f64 v[8:9], v[51:52], -v[38:39]
	v_fma_f64 v[10:11], v[10:11], -0.5, v[60:61]
	v_add_f64 v[14:15], v[48:49], -v[46:47]
	v_add_f64 v[38:39], v[114:115], -v[126:127]
	ds_write2_b64 v232, v[8:9], v[4:5] offset0:192 offset1:252
	v_add_f64 v[4:5], v[112:113], v[124:125]
	v_add_f64 v[8:9], v[60:61], v[48:49]
	v_fma_f64 v[202:203], v[30:31], s[4:5], v[10:11]
	v_fma_f64 v[198:199], v[14:15], s[4:5], v[26:27]
	;; [unrolled: 1-line block ×4, first 2 shown]
	v_lshl_add_u32 v49, v71, 3, 0
	v_add_f64 v[14:15], v[150:151], v[160:161]
	v_add_f64 v[26:27], v[146:147], -v[158:159]
	v_add_nc_u32_e32 v233, 0x2000, v49
	v_add_nc_u32_e32 v234, 0x2800, v49
	v_fma_f64 v[4:5], v[4:5], -0.5, v[6:7]
	v_add_f64 v[6:7], v[6:7], v[112:113]
	v_add_f64 v[8:9], v[8:9], v[46:47]
	v_mul_f64 v[36:37], v[198:199], s[0:1]
	v_fma_f64 v[14:15], v[14:15], -0.5, v[134:135]
	v_fma_f64 v[43:44], v[38:39], s[0:1], v[4:5]
	v_add_f64 v[6:7], v[6:7], v[124:125]
	v_fma_f64 v[4:5], v[38:39], s[4:5], v[4:5]
	v_fma_f64 v[36:37], v[200:201], 0.5, v[36:37]
	v_add_f64 v[45:46], v[6:7], v[8:9]
	v_add_f64 v[6:7], v[6:7], -v[8:9]
	v_mul_f64 v[8:9], v[202:203], -0.5
	v_add_f64 v[47:48], v[43:44], v[36:37]
	v_fma_f64 v[8:9], v[204:205], s[0:1], v[8:9]
	ds_write2_b64 v233, v[45:46], v[47:48] offset0:56 offset1:116
	v_add_f64 v[10:11], v[4:5], v[8:9]
	v_add_f64 v[4:5], v[4:5], -v[8:9]
	v_add_f64 v[8:9], v[24:25], -v[16:17]
	ds_write2_b64 v233, v[10:11], v[6:7] offset0:176 offset1:236
	v_add_f64 v[6:7], v[43:44], -v[36:37]
	v_add_f64 v[10:11], v[0:1], v[144:145]
	v_fma_f64 v[206:207], v[8:9], s[4:5], v[14:15]
	v_fma_f64 v[213:214], v[8:9], s[0:1], v[14:15]
	ds_write2_b64 v234, v[6:7], v[4:5] offset0:40 offset1:100
	v_add_f64 v[4:5], v[40:41], v[24:25]
	v_add_f64 v[6:7], v[24:25], v[16:17]
	;; [unrolled: 1-line block ×3, first 2 shown]
	v_mul_f64 v[24:25], v[206:207], s[0:1]
	v_add_f64 v[4:5], v[4:5], v[16:17]
	v_add_f64 v[16:17], v[144:145], v[156:157]
	v_fma_f64 v[6:7], v[6:7], -0.5, v[40:41]
	v_lshl_add_u32 v40, v50, 3, 0
	v_add_nc_u32_e32 v236, 0x3000, v40
	v_add_nc_u32_e32 v235, 0x2800, v40
	v_add_f64 v[36:37], v[10:11], v[4:5]
	v_fma_f64 v[0:1], v[16:17], -0.5, v[0:1]
	v_add_f64 v[16:17], v[150:151], -v[160:161]
	v_add_f64 v[4:5], v[10:11], -v[4:5]
	v_add_f64 v[10:11], v[148:149], v[162:163]
	v_fma_f64 v[30:31], v[26:27], s[0:1], v[0:1]
	v_fma_f64 v[210:211], v[16:17], s[4:5], v[6:7]
	;; [unrolled: 1-line block ×4, first 2 shown]
	v_fma_f64 v[10:11], v[10:11], -0.5, v[138:139]
	v_add_f64 v[16:17], v[142:143], -v[154:155]
	v_mul_f64 v[6:7], v[210:211], -0.5
	v_fma_f64 v[24:25], v[208:209], 0.5, v[24:25]
	v_fma_f64 v[6:7], v[213:214], s[0:1], v[6:7]
	v_add_f64 v[38:39], v[30:31], v[24:25]
	v_add_f64 v[8:9], v[0:1], v[6:7]
	v_add_f64 v[0:1], v[0:1], -v[6:7]
	v_add_f64 v[6:7], v[20:21], v[12:13]
	ds_write2_b64 v235, v[36:37], v[38:39] offset0:160 offset1:220
	ds_write2_b64 v236, v[8:9], v[4:5] offset0:24 offset1:84
	v_add_f64 v[4:5], v[30:31], -v[24:25]
	v_add_f64 v[8:9], v[20:21], -v[12:13]
	v_fma_f64 v[6:7], v[6:7], -0.5, v[28:29]
	ds_write2_b64 v236, v[4:5], v[0:1] offset0:144 offset1:204
	v_add_f64 v[0:1], v[140:141], v[152:153]
	v_add_f64 v[4:5], v[28:29], v[20:21]
	v_fma_f64 v[215:216], v[8:9], s[4:5], v[10:11]
	v_fma_f64 v[221:222], v[8:9], s[0:1], v[10:11]
	v_lshl_add_u32 v28, v42, 3, 0
	v_add_nc_u32_e32 v237, 0x3800, v28
	v_add_nc_u32_e32 v238, 0x3c00, v28
	v_fma_f64 v[0:1], v[0:1], -0.5, v[2:3]
	v_add_f64 v[2:3], v[2:3], v[140:141]
	v_add_f64 v[4:5], v[4:5], v[12:13]
	v_add_f64 v[12:13], v[148:149], -v[162:163]
	v_mul_f64 v[14:15], v[215:216], s[0:1]
	v_fma_f64 v[20:21], v[16:17], s[0:1], v[0:1]
	v_add_f64 v[2:3], v[2:3], v[152:153]
	v_fma_f64 v[0:1], v[16:17], s[4:5], v[0:1]
	v_fma_f64 v[219:220], v[12:13], s[4:5], v[6:7]
	;; [unrolled: 1-line block ×3, first 2 shown]
	v_add_f64 v[24:25], v[2:3], v[4:5]
	v_add_f64 v[2:3], v[2:3], -v[4:5]
	v_mul_f64 v[4:5], v[219:220], -0.5
	v_fma_f64 v[14:15], v[217:218], 0.5, v[14:15]
	v_fma_f64 v[4:5], v[221:222], s[0:1], v[4:5]
	v_add_f64 v[26:27], v[20:21], v[14:15]
	v_add_f64 v[6:7], v[0:1], v[4:5]
	v_add_f64 v[0:1], v[0:1], -v[4:5]
	ds_write2_b64 v237, v[24:25], v[26:27] offset0:8 offset1:68
	ds_write2_b64 v237, v[6:7], v[2:3] offset0:128 offset1:188
	v_add_f64 v[2:3], v[20:21], -v[14:15]
	ds_write2_b64 v238, v[2:3], v[0:1] offset0:120 offset1:180
	v_add_f64 v[2:3], v[86:87], v[96:97]
	v_add_f64 v[0:1], v[32:33], -v[34:35]
	s_waitcnt lgkmcnt(0)
	s_barrier
	buffer_gl0_inv
	v_fma_f64 v[2:3], v[2:3], -0.5, v[80:81]
	v_add_f64 v[80:81], v[80:81], v[86:87]
	v_fma_f64 v[223:224], v[0:1], s[4:5], v[2:3]
	v_fma_f64 v[225:226], v[0:1], s[0:1], v[2:3]
	v_mul_f64 v[0:1], v[64:65], s[4:5]
	v_add_f64 v[80:81], v[80:81], v[96:97]
	v_fma_f64 v[227:228], v[62:63], 0.5, v[0:1]
	v_mul_f64 v[0:1], v[18:19], -0.5
	v_fma_f64 v[229:230], v[22:23], s[4:5], v[0:1]
	ds_read2_b64 v[12:15], v178 offset0:80 offset1:140
	ds_read2_b64 v[16:19], v176 offset0:56 offset1:116
	;; [unrolled: 1-line block ×12, first 2 shown]
	ds_read2_b64 v[0:3], v170 offset1:60
	ds_read2_b64 v[24:27], v171 offset0:104 offset1:164
	ds_read2_b64 v[4:7], v170 offset0:120 offset1:180
	ds_read2_b64 v[44:47], v172 offset0:96 offset1:156
	ds_read2_b64 v[8:11], v175 offset0:112 offset1:172
	ds_read2_b64 v[52:55], v173 offset0:88 offset1:148
	s_waitcnt lgkmcnt(0)
	s_barrier
	buffer_gl0_inv
	ds_write2_b64 v172, v[98:99], v[88:89] offset0:96 offset1:156
	v_add_f64 v[88:89], v[94:95], -v[100:101]
	v_add_f64 v[176:177], v[223:224], -v[227:228]
	ds_write2_b64 v171, v[102:103], v[108:109] offset0:104 offset1:164
	v_add_f64 v[178:179], v[225:226], -v[229:230]
	ds_write2_b64 v173, v[88:89], v[82:83] offset0:88 offset1:148
	v_add_f64 v[82:83], v[84:85], v[92:93]
	v_add_f64 v[84:85], v[223:224], v[227:228]
	v_mul_f64 v[88:89], v[192:193], s[4:5]
	ds_write2_b64 v175, v[176:177], v[178:179] offset0:112 offset1:172
	v_add_f64 v[82:83], v[82:83], v[106:107]
	v_fma_f64 v[88:89], v[190:191], 0.5, v[88:89]
	v_add_f64 v[86:87], v[80:81], v[82:83]
	v_add_f64 v[80:81], v[80:81], -v[82:83]
	v_add_f64 v[82:83], v[76:77], v[118:119]
	ds_write2_b64 v170, v[86:87], v[84:85] offset1:60
	v_add_f64 v[84:85], v[225:226], v[229:230]
	v_add_f64 v[86:87], v[116:117], -v[128:129]
	v_add_f64 v[82:83], v[82:83], v[130:131]
	ds_write2_b64 v170, v[84:85], v[80:81] offset0:120 offset1:180
	v_add_f64 v[84:85], v[118:119], v[130:131]
	v_add_f64 v[80:81], v[104:105], v[122:123]
	v_fma_f64 v[76:77], v[84:85], -0.5, v[76:77]
	v_add_f64 v[80:81], v[80:81], v[132:133]
	v_fma_f64 v[84:85], v[86:87], s[4:5], v[76:77]
	v_fma_f64 v[76:77], v[86:87], s[0:1], v[76:77]
	v_mul_f64 v[86:87], v[196:197], -0.5
	v_add_f64 v[90:91], v[82:83], v[80:81]
	v_add_f64 v[80:81], v[82:83], -v[80:81]
	v_add_f64 v[92:93], v[84:85], v[88:89]
	v_fma_f64 v[86:87], v[194:195], s[4:5], v[86:87]
	ds_write2_b64 v231, v[90:91], v[92:93] offset0:80 offset1:140
	v_add_f64 v[82:83], v[76:77], v[86:87]
	v_add_f64 v[76:77], v[76:77], -v[86:87]
	ds_write2_b64 v232, v[82:83], v[80:81] offset0:72 offset1:132
	v_add_f64 v[80:81], v[84:85], -v[88:89]
	v_add_f64 v[82:83], v[112:113], -v[124:125]
	v_mul_f64 v[84:85], v[200:201], s[4:5]
	ds_write2_b64 v232, v[80:81], v[76:77] offset0:192 offset1:252
	v_add_f64 v[76:77], v[114:115], v[126:127]
	v_add_f64 v[80:81], v[78:79], v[114:115]
	v_fma_f64 v[84:85], v[198:199], 0.5, v[84:85]
	v_fma_f64 v[76:77], v[76:77], -0.5, v[78:79]
	v_add_f64 v[78:79], v[110:111], v[120:121]
	v_add_f64 v[80:81], v[80:81], v[126:127]
	v_fma_f64 v[86:87], v[82:83], s[4:5], v[76:77]
	v_fma_f64 v[76:77], v[82:83], s[0:1], v[76:77]
	v_mul_f64 v[82:83], v[204:205], -0.5
	v_add_f64 v[78:79], v[78:79], v[136:137]
	v_add_f64 v[90:91], v[86:87], v[84:85]
	v_fma_f64 v[82:83], v[202:203], s[4:5], v[82:83]
	v_add_f64 v[88:89], v[80:81], v[78:79]
	v_add_f64 v[78:79], v[80:81], -v[78:79]
	v_add_f64 v[80:81], v[76:77], v[82:83]
	v_add_f64 v[76:77], v[76:77], -v[82:83]
	v_add_f64 v[82:83], v[144:145], -v[156:157]
	ds_write2_b64 v233, v[88:89], v[90:91] offset0:56 offset1:116
	ds_write2_b64 v233, v[80:81], v[78:79] offset0:176 offset1:236
	v_add_f64 v[78:79], v[86:87], -v[84:85]
	v_add_f64 v[80:81], v[146:147], v[158:159]
	v_mul_f64 v[84:85], v[208:209], s[4:5]
	ds_write2_b64 v234, v[78:79], v[76:77] offset0:40 offset1:100
	v_add_f64 v[78:79], v[72:73], v[146:147]
	v_fma_f64 v[72:73], v[80:81], -0.5, v[72:73]
	v_add_f64 v[76:77], v[134:135], v[150:151]
	v_fma_f64 v[84:85], v[206:207], 0.5, v[84:85]
	v_add_f64 v[78:79], v[78:79], v[158:159]
	v_fma_f64 v[80:81], v[82:83], s[4:5], v[72:73]
	v_fma_f64 v[72:73], v[82:83], s[0:1], v[72:73]
	v_mul_f64 v[82:83], v[213:214], -0.5
	v_add_f64 v[76:77], v[76:77], v[160:161]
	v_add_f64 v[88:89], v[80:81], v[84:85]
	v_fma_f64 v[82:83], v[210:211], s[4:5], v[82:83]
	v_add_f64 v[86:87], v[78:79], v[76:77]
	v_add_f64 v[76:77], v[78:79], -v[76:77]
	v_add_f64 v[78:79], v[72:73], v[82:83]
	v_add_f64 v[72:73], v[72:73], -v[82:83]
	ds_write2_b64 v235, v[86:87], v[88:89] offset0:160 offset1:220
	ds_write2_b64 v236, v[78:79], v[76:77] offset0:24 offset1:84
	v_add_f64 v[76:77], v[80:81], -v[84:85]
	v_add_f64 v[78:79], v[140:141], -v[152:153]
	v_mul_f64 v[80:81], v[217:218], s[4:5]
	ds_write2_b64 v236, v[76:77], v[72:73] offset0:144 offset1:204
	v_add_f64 v[72:73], v[142:143], v[154:155]
	v_add_f64 v[76:77], v[74:75], v[142:143]
	v_fma_f64 v[80:81], v[215:216], 0.5, v[80:81]
	v_fma_f64 v[72:73], v[72:73], -0.5, v[74:75]
	v_add_f64 v[74:75], v[138:139], v[148:149]
	v_add_f64 v[76:77], v[76:77], v[154:155]
	v_fma_f64 v[82:83], v[78:79], s[4:5], v[72:73]
	v_fma_f64 v[72:73], v[78:79], s[0:1], v[72:73]
	v_mul_f64 v[78:79], v[221:222], -0.5
	v_add_f64 v[74:75], v[74:75], v[162:163]
	v_add_f64 v[86:87], v[82:83], v[80:81]
	v_fma_f64 v[78:79], v[219:220], s[4:5], v[78:79]
	v_add_f64 v[84:85], v[76:77], v[74:75]
	v_add_f64 v[74:75], v[76:77], -v[74:75]
	v_add_f64 v[76:77], v[72:73], v[78:79]
	v_add_f64 v[72:73], v[72:73], -v[78:79]
	ds_write2_b64 v237, v[84:85], v[86:87] offset0:8 offset1:68
	ds_write2_b64 v237, v[76:77], v[74:75] offset0:128 offset1:188
	v_add_f64 v[74:75], v[82:83], -v[80:81]
	ds_write2_b64 v238, v[74:75], v[72:73] offset0:120 offset1:180
	s_waitcnt lgkmcnt(0)
	s_barrier
	buffer_gl0_inv
	s_and_saveexec_b32 s6, vcc_lo
	s_cbranch_execz .LBB0_21
; %bb.20:
	v_mul_u32_u24_e32 v72, 5, v164
	v_mov_b32_e32 v109, 0
	v_mad_u32_u24 v108, v164, 5, 0xfffffed4
	v_add_nc_u32_e32 v179, 0x3000, v170
	v_add_nc_u32_e32 v243, 0x2800, v170
	v_lshlrev_b32_e32 v72, 4, v72
	v_mul_lo_u32 v247, s3, v182
	v_mul_lo_u32 v248, s2, v183
	v_add_nc_u32_e32 v221, 0x1000, v170
	v_add_nc_u32_e32 v251, 0x2000, v170
	v_add_co_u32 v80, s6, s12, v72
	v_add_co_ci_u32_e64 v81, null, s13, 0, s6
	v_lshlrev_b64 v[72:73], 4, v[108:109]
	v_add_co_u32 v76, vcc_lo, 0x15e0, v80
	v_add_co_ci_u32_e32 v77, vcc_lo, 0, v81, vcc_lo
	v_add_co_u32 v112, s6, s12, v165
	v_add_co_u32 v92, vcc_lo, s12, v72
	v_add_co_ci_u32_e32 v93, vcc_lo, s13, v73, vcc_lo
	global_load_dwordx4 v[72:75], v[76:77], off offset:16
	v_add_co_u32 v78, vcc_lo, 0x15e0, v92
	v_add_co_ci_u32_e32 v79, vcc_lo, 0, v93, vcc_lo
	s_clause 0x2
	global_load_dwordx4 v[96:99], v[78:79], off offset:16
	global_load_dwordx4 v[88:91], v[76:77], off offset:48
	;; [unrolled: 1-line block ×3, first 2 shown]
	v_add_co_u32 v110, vcc_lo, 0x1000, v80
	v_add_co_ci_u32_e32 v111, vcc_lo, 0, v81, vcc_lo
	v_add_co_u32 v100, vcc_lo, 0x1000, v92
	global_load_dwordx4 v[80:83], v[76:77], off offset:32
	v_add_co_ci_u32_e32 v101, vcc_lo, 0, v93, vcc_lo
	s_clause 0x3
	global_load_dwordx4 v[76:79], v[78:79], off offset:32
	global_load_dwordx4 v[104:107], v[110:111], off offset:1568
	;; [unrolled: 1-line block ×4, first 2 shown]
	v_add_co_ci_u32_e64 v113, null, s13, 0, s6
	v_mad_u32_u24 v108, v164, 5, 0xfffffda8
	v_add_co_u32 v200, vcc_lo, 0x15e0, v112
	v_add_co_ci_u32_e32 v201, vcc_lo, 0, v113, vcc_lo
	global_load_dwordx4 v[114:117], v[110:111], off offset:1504
	v_add_co_u32 v110, vcc_lo, 0x1000, v112
	v_add_co_ci_u32_e32 v111, vcc_lo, 0, v113, vcc_lo
	v_lshlrev_b64 v[112:113], 4, v[108:109]
	v_mad_u32_u24 v108, v164, 5, 0xfffffc7c
	s_clause 0x3
	global_load_dwordx4 v[118:121], v[200:201], off offset:48
	global_load_dwordx4 v[122:125], v[200:201], off offset:32
	global_load_dwordx4 v[126:129], v[110:111], off offset:1504
	global_load_dwordx4 v[130:133], v[110:111], off offset:1568
	v_add_nc_u32_e32 v252, 0x3800, v170
	v_add_nc_u32_e32 v250, 0xc00, v170
	;; [unrolled: 1-line block ×3, first 2 shown]
	v_add_co_u32 v134, vcc_lo, s12, v112
	v_add_co_ci_u32_e32 v135, vcc_lo, s13, v113, vcc_lo
	v_lshlrev_b64 v[110:111], 4, v[108:109]
	v_add_co_u32 v146, vcc_lo, 0x15e0, v134
	v_mad_u32_u24 v108, v164, 5, 0xfffffb50
	v_add_co_ci_u32_e32 v147, vcc_lo, 0, v135, vcc_lo
	v_add_co_u32 v150, vcc_lo, 0x1000, v134
	v_add_co_ci_u32_e32 v151, vcc_lo, 0, v135, vcc_lo
	v_lshlrev_b64 v[112:113], 4, v[108:109]
	v_add_co_u32 v108, vcc_lo, s12, v110
	v_add_co_ci_u32_e32 v154, vcc_lo, s13, v111, vcc_lo
	s_clause 0x1
	global_load_dwordx4 v[134:137], v[146:147], off offset:32
	global_load_dwordx4 v[138:141], v[146:147], off offset:16
	v_add_co_u32 v110, vcc_lo, 0x15e0, v108
	v_add_co_ci_u32_e32 v111, vcc_lo, 0, v154, vcc_lo
	s_clause 0x2
	global_load_dwordx4 v[142:145], v[150:151], off offset:1504
	global_load_dwordx4 v[146:149], v[146:147], off offset:48
	global_load_dwordx4 v[150:153], v[150:151], off offset:1568
	v_add_co_u32 v171, vcc_lo, 0x1000, v108
	v_add_co_ci_u32_e32 v172, vcc_lo, 0, v154, vcc_lo
	s_clause 0x4
	global_load_dwordx4 v[154:157], v[110:111], off offset:16
	global_load_dwordx4 v[158:161], v[110:111], off offset:48
	;; [unrolled: 1-line block ×5, first 2 shown]
	v_add_co_u32 v108, vcc_lo, s12, v112
	v_add_co_ci_u32_e32 v113, vcc_lo, s13, v113, vcc_lo
	v_add_nc_u32_e32 v253, 0x1400, v170
	v_add_co_u32 v110, vcc_lo, 0x15e0, v108
	v_add_co_ci_u32_e32 v111, vcc_lo, 0, v113, vcc_lo
	v_add_co_u32 v112, vcc_lo, 0x1000, v108
	v_add_co_ci_u32_e32 v113, vcc_lo, 0, v113, vcc_lo
	s_clause 0x5
	global_load_dwordx4 v[175:178], v[110:111], off offset:16
	global_load_dwordx4 v[184:187], v[110:111], off offset:48
	global_load_dwordx4 v[188:191], v[110:111], off offset:32
	global_load_dwordx4 v[192:195], v[112:113], off offset:1568
	global_load_dwordx4 v[196:199], v[112:113], off offset:1504
	global_load_dwordx4 v[200:203], v[200:201], off offset:16
	v_add_nc_u32_e32 v108, 0x1800, v170
	ds_read2_b64 v[208:211], v179 offset0:144 offset1:204
	v_mad_u64_u32 v[110:111], null, s2, v182, 0
	ds_read2_b64 v[213:216], v243 offset0:40 offset1:100
	ds_read2_b64 v[204:207], v108 offset0:192 offset1:252
	;; [unrolled: 1-line block ×3, first 2 shown]
	v_add_nc_u32_e32 v249, 0x400, v170
	v_add3_u32 v111, v111, v248, v247
	s_waitcnt vmcnt(29) lgkmcnt(1)
	v_mul_f64 v[182:183], v[72:73], v[206:207]
	v_mul_f64 v[112:113], v[74:75], v[206:207]
	v_add_nc_u32_e32 v206, 0x3c00, v170
	s_waitcnt vmcnt(28)
	v_mul_f64 v[225:226], v[98:99], v[204:205]
	v_mul_f64 v[227:228], v[96:97], v[204:205]
	ds_read2_b64 v[204:207], v206 offset0:120 offset1:180
	s_waitcnt vmcnt(27)
	v_mul_f64 v[229:230], v[90:91], v[210:211]
	v_mul_f64 v[231:232], v[88:89], v[210:211]
	s_waitcnt vmcnt(26)
	v_mul_f64 v[233:234], v[86:87], v[208:209]
	v_mul_f64 v[235:236], v[84:85], v[208:209]
	ds_read2_b64 v[208:211], v221 offset0:88 offset1:148
	ds_read2_b64 v[221:224], v108 offset0:72 offset1:132
	v_lshrrev_b32_e32 v108, 3, v212
	s_waitcnt vmcnt(25)
	v_mul_f64 v[239:240], v[80:81], v[215:216]
	v_mul_f64 v[237:238], v[82:83], v[215:216]
	s_waitcnt vmcnt(24)
	v_mul_f64 v[241:242], v[76:77], v[213:214]
	v_fma_f64 v[182:183], v[70:71], v[74:75], v[182:183]
	v_mul_f64 v[74:75], v[78:79], v[213:214]
	ds_read2_b64 v[213:216], v243 offset0:160 offset1:220
	v_fma_f64 v[112:113], v[70:71], v[72:73], -v[112:113]
	ds_read2_b64 v[70:73], v179 offset0:24 offset1:84
	s_waitcnt vmcnt(23) lgkmcnt(4)
	v_mul_f64 v[243:244], v[106:107], v[206:207]
	v_mul_f64 v[206:207], v[104:105], v[206:207]
	s_waitcnt vmcnt(21)
	v_mul_f64 v[245:246], v[102:103], v[204:205]
	v_mul_f64 v[204:205], v[100:101], v[204:205]
	v_fma_f64 v[225:226], v[68:69], v[96:97], -v[225:226]
	v_fma_f64 v[227:228], v[68:69], v[98:99], v[227:228]
	ds_read2_b64 v[96:99], v251 offset0:56 offset1:116
	v_fma_f64 v[88:89], v[66:67], v[88:89], -v[229:230]
	v_fma_f64 v[90:91], v[66:67], v[90:91], v[231:232]
	v_fma_f64 v[229:230], v[64:65], v[84:85], -v[233:234]
	v_fma_f64 v[231:232], v[64:65], v[86:87], v[235:236]
	ds_read2_b64 v[84:87], v252 offset0:8 offset1:68
	s_waitcnt vmcnt(20) lgkmcnt(5)
	v_mul_f64 v[233:234], v[116:117], v[210:211]
	v_mul_f64 v[210:211], v[114:115], v[210:211]
	v_fma_f64 v[82:83], v[62:63], v[82:83], v[239:240]
	ds_read2_b64 v[66:69], v254 offset0:104 offset1:164
	v_fma_f64 v[235:236], v[62:63], v[80:81], -v[237:238]
	v_fma_f64 v[239:240], v[60:61], v[76:77], -v[74:75]
	v_fma_f64 v[60:61], v[60:61], v[78:79], v[241:242]
	s_waitcnt vmcnt(19) lgkmcnt(4)
	v_mul_f64 v[241:242], v[120:121], v[213:214]
	v_mul_f64 v[213:214], v[118:119], v[213:214]
	ds_read2_b64 v[62:65], v250 offset0:96 offset1:156
	ds_read2_b64 v[74:77], v251 offset0:176 offset1:236
	ds_read2_b64 v[78:81], v252 offset0:128 offset1:188
	v_mul_f64 v[237:238], v[94:95], v[208:209]
	v_mul_f64 v[208:209], v[92:93], v[208:209]
	v_fma_f64 v[106:107], v[58:59], v[106:107], v[206:207]
	s_waitcnt vmcnt(18) lgkmcnt(5)
	v_mul_f64 v[206:207], v[124:125], v[96:97]
	v_mul_f64 v[96:97], v[122:123], v[96:97]
	v_fma_f64 v[102:103], v[56:57], v[102:103], v[204:205]
	v_fma_f64 v[104:105], v[58:59], v[104:105], -v[243:244]
	v_fma_f64 v[100:101], v[56:57], v[100:101], -v[245:246]
	s_waitcnt vmcnt(16) lgkmcnt(4)
	v_mul_f64 v[204:205], v[132:133], v[84:85]
	v_mul_f64 v[84:85], v[130:131], v[84:85]
	ds_read2_b64 v[56:59], v253 offset0:80 offset1:140
	v_fma_f64 v[114:115], v[54:55], v[114:115], -v[233:234]
	s_waitcnt lgkmcnt(4)
	v_mul_f64 v[243:244], v[128:129], v[66:67]
	v_fma_f64 v[116:117], v[54:55], v[116:117], v[210:211]
	v_mul_f64 v[54:55], v[126:127], v[66:67]
	s_waitcnt vmcnt(14)
	v_mul_f64 v[66:67], v[140:141], v[223:224]
	v_mul_f64 v[210:211], v[138:139], v[223:224]
	v_fma_f64 v[118:119], v[28:29], v[118:119], -v[241:242]
	v_fma_f64 v[120:121], v[28:29], v[120:121], v[213:214]
	s_waitcnt lgkmcnt(2)
	v_mul_f64 v[28:29], v[136:137], v[76:77]
	s_waitcnt vmcnt(11) lgkmcnt(1)
	v_mul_f64 v[213:214], v[152:153], v[80:81]
	v_mul_f64 v[76:77], v[134:135], v[76:77]
	;; [unrolled: 1-line block ×3, first 2 shown]
	v_fma_f64 v[94:95], v[52:53], v[94:95], v[208:209]
	v_mul_f64 v[208:209], v[148:149], v[72:73]
	v_mul_f64 v[72:73], v[146:147], v[72:73]
	v_fma_f64 v[122:123], v[16:17], v[122:123], -v[206:207]
	v_fma_f64 v[16:17], v[16:17], v[124:125], v[96:97]
	v_fma_f64 v[92:93], v[52:53], v[92:93], -v[237:238]
	v_fma_f64 v[124:125], v[20:21], v[130:131], -v[204:205]
	v_fma_f64 v[130:131], v[20:21], v[132:133], v[84:85]
	v_mul_f64 v[20:21], v[142:143], v[64:65]
	s_waitcnt vmcnt(8)
	v_mul_f64 v[132:133], v[164:165], v[74:75]
	v_mul_f64 v[74:75], v[162:163], v[74:75]
	s_waitcnt vmcnt(6)
	v_mul_f64 v[204:205], v[173:174], v[78:79]
	v_mul_f64 v[78:79], v[171:172], v[78:79]
	;; [unrolled: 1-line block ×9, first 2 shown]
	v_fma_f64 v[126:127], v[24:25], v[126:127], -v[243:244]
	v_fma_f64 v[24:25], v[24:25], v[128:129], v[54:55]
	s_waitcnt vmcnt(5) lgkmcnt(0)
	v_mul_f64 v[128:129], v[177:178], v[58:59]
	s_waitcnt vmcnt(4)
	v_mul_f64 v[221:222], v[186:187], v[215:216]
	v_mul_f64 v[233:234], v[175:176], v[58:59]
	;; [unrolled: 1-line block ×3, first 2 shown]
	s_waitcnt vmcnt(3)
	v_mul_f64 v[237:238], v[190:191], v[98:99]
	v_mul_f64 v[98:99], v[188:189], v[98:99]
	s_waitcnt vmcnt(2)
	v_mul_f64 v[241:242], v[194:195], v[86:87]
	v_mul_f64 v[86:87], v[192:193], v[86:87]
	;; [unrolled: 3-line block ×4, first 2 shown]
	v_fma_f64 v[28:29], v[34:35], v[134:135], -v[28:29]
	v_fma_f64 v[134:135], v[38:39], v[150:151], -v[213:214]
	v_fma_f64 v[34:35], v[34:35], v[136:137], v[76:77]
	v_fma_f64 v[38:39], v[38:39], v[152:153], v[80:81]
	ds_read2_b64 v[56:59], v249 offset0:112 offset1:172
	v_fma_f64 v[66:67], v[42:43], v[138:139], -v[66:67]
	v_fma_f64 v[42:43], v[42:43], v[140:141], v[210:211]
	v_fma_f64 v[138:139], v[50:51], v[146:147], -v[208:209]
	v_fma_f64 v[50:51], v[50:51], v[148:149], v[72:73]
	v_fma_f64 v[20:21], v[46:47], v[144:145], v[20:21]
	v_fma_f64 v[76:77], v[32:33], v[162:163], -v[132:133]
	v_fma_f64 v[80:81], v[36:37], v[171:172], -v[204:205]
	v_fma_f64 v[32:33], v[32:33], v[164:165], v[74:75]
	v_fma_f64 v[36:37], v[36:37], v[173:174], v[78:79]
	ds_read2_b64 v[52:55], v170 offset1:60
	v_fma_f64 v[72:73], v[46:47], v[142:143], -v[223:224]
	v_fma_f64 v[46:47], v[40:41], v[154:155], -v[64:65]
	;; [unrolled: 1-line block ×3, first 2 shown]
	v_fma_f64 v[40:41], v[40:41], v[156:157], v[84:85]
	v_fma_f64 v[48:49], v[48:49], v[160:161], v[70:71]
	v_fma_f64 v[70:71], v[44:45], v[166:167], -v[206:207]
	v_fma_f64 v[44:45], v[44:45], v[168:169], v[62:63]
	v_add_f64 v[62:63], v[122:123], v[124:125]
	v_add_f64 v[74:75], v[16:17], -v[130:131]
	v_add_f64 v[84:85], v[16:17], v[130:131]
	v_add_f64 v[132:133], v[24:25], v[16:17]
	v_fma_f64 v[16:17], v[14:15], v[175:176], -v[128:129]
	v_fma_f64 v[128:129], v[30:31], v[184:185], -v[221:222]
	v_fma_f64 v[14:15], v[14:15], v[177:178], v[233:234]
	v_fma_f64 v[136:137], v[30:31], v[186:187], v[215:216]
	v_fma_f64 v[30:31], v[26:27], v[196:197], -v[243:244]
	v_fma_f64 v[96:97], v[18:19], v[188:189], -v[237:238]
	;; [unrolled: 1-line block ×3, first 2 shown]
	v_fma_f64 v[18:19], v[18:19], v[190:191], v[98:99]
	v_fma_f64 v[98:99], v[22:23], v[194:195], v[86:87]
	;; [unrolled: 1-line block ×3, first 2 shown]
	v_fma_f64 v[26:27], v[12:13], v[200:201], -v[245:246]
	v_fma_f64 v[12:13], v[12:13], v[202:203], v[247:248]
	v_add_f64 v[86:87], v[182:183], v[90:91]
	s_waitcnt lgkmcnt(1)
	v_add_f64 v[142:143], v[182:183], v[58:59]
	v_add_f64 v[144:145], v[116:117], v[82:83]
	;; [unrolled: 1-line block ×4, first 2 shown]
	v_add_f64 v[154:155], v[82:83], -v[106:107]
	v_add_f64 v[82:83], v[82:83], v[106:107]
	v_add_f64 v[164:165], v[60:61], -v[102:103]
	v_add_f64 v[168:169], v[60:61], v[102:103]
	v_add_f64 v[170:171], v[227:228], v[56:57]
	;; [unrolled: 1-line block ×4, first 2 shown]
	v_add_f64 v[68:69], v[112:113], -v[88:89]
	v_add_f64 v[112:113], v[10:11], v[112:113]
	v_add_f64 v[150:151], v[114:115], v[235:236]
	;; [unrolled: 1-line block ×6, first 2 shown]
	v_add_f64 v[188:189], v[34:35], -v[38:39]
	v_add_f64 v[34:35], v[20:21], v[34:35]
	v_add_f64 v[196:197], v[66:67], v[138:139]
	v_add_f64 v[208:209], v[32:33], v[36:37]
	v_add_f64 v[172:173], v[225:226], v[229:230]
	v_add_f64 v[186:187], v[28:29], v[134:135]
	v_add_f64 v[194:195], v[42:43], v[219:220]
	v_add_f64 v[202:203], v[76:77], v[80:81]
	v_add_f64 v[78:79], v[122:123], -v[124:125]
	v_add_f64 v[148:149], v[182:183], -v[90:91]
	;; [unrolled: 1-line block ×4, first 2 shown]
	v_add_f64 v[160:161], v[227:228], v[231:232]
	v_add_f64 v[166:167], v[239:240], -v[100:101]
	v_add_f64 v[174:175], v[227:228], -v[231:232]
	;; [unrolled: 1-line block ×4, first 2 shown]
	v_add_f64 v[66:67], v[6:7], v[66:67]
	v_add_f64 v[28:29], v[72:73], v[28:29]
	v_add_f64 v[198:199], v[46:47], -v[64:65]
	v_add_f64 v[204:205], v[32:33], -v[36:37]
	v_add_f64 v[210:211], v[40:41], v[217:218]
	v_add_f64 v[32:33], v[44:45], v[32:33]
	;; [unrolled: 1-line block ×4, first 2 shown]
	v_fma_f64 v[62:63], v[62:63], -0.5, v[126:127]
	v_fma_f64 v[24:25], v[84:85], -0.5, v[24:25]
	v_add_f64 v[84:85], v[16:17], -v[128:129]
	v_add_f64 v[215:216], v[14:15], v[136:137]
	v_add_f64 v[221:222], v[96:97], v[140:141]
	v_add_f64 v[223:224], v[18:19], -v[98:99]
	v_add_f64 v[225:226], v[96:97], -v[140:141]
	v_add_f64 v[227:228], v[18:19], v[98:99]
	s_waitcnt lgkmcnt(0)
	v_add_f64 v[233:234], v[14:15], v[54:55]
	v_add_f64 v[235:236], v[22:23], v[18:19]
	;; [unrolled: 1-line block ×3, first 2 shown]
	v_add_f64 v[237:238], v[14:15], -v[136:137]
	v_add_f64 v[239:240], v[2:3], v[16:17]
	v_add_f64 v[241:242], v[30:31], v[96:97]
	v_add_f64 v[243:244], v[26:27], -v[118:119]
	v_add_f64 v[14:15], v[12:13], v[120:121]
	v_add_f64 v[245:246], v[12:13], v[52:53]
	;; [unrolled: 1-line block ×3, first 2 shown]
	v_add_f64 v[247:248], v[12:13], -v[120:121]
	v_add_f64 v[249:250], v[0:1], v[26:27]
	v_fma_f64 v[12:13], v[86:87], -0.5, v[58:59]
	v_add_f64 v[26:27], v[90:91], v[142:143]
	v_add_f64 v[58:59], v[144:145], v[106:107]
	v_fma_f64 v[10:11], v[146:147], -0.5, v[10:11]
	v_fma_f64 v[90:91], v[152:153], -0.5, v[114:115]
	;; [unrolled: 1-line block ×3, first 2 shown]
	v_add_f64 v[96:97], v[231:232], v[170:171]
	v_add_f64 v[60:61], v[60:61], v[102:103]
	v_fma_f64 v[20:21], v[192:193], -0.5, v[20:21]
	v_add_f64 v[42:43], v[42:43], -v[50:51]
	v_add_f64 v[206:207], v[76:77], -v[80:81]
	v_add_f64 v[86:87], v[112:113], v[88:89]
	v_add_f64 v[88:89], v[150:151], v[104:105]
	v_fma_f64 v[92:93], v[162:163], -0.5, v[92:93]
	v_fma_f64 v[94:95], v[168:169], -0.5, v[94:95]
	v_add_f64 v[102:103], v[176:177], v[229:230]
	v_add_f64 v[100:101], v[178:179], v[100:101]
	v_fma_f64 v[104:105], v[184:185], -0.5, v[219:220]
	v_add_f64 v[34:35], v[34:35], v[38:39]
	v_fma_f64 v[38:39], v[196:197], -0.5, v[6:7]
	v_fma_f64 v[44:45], v[208:209], -0.5, v[44:45]
	;; [unrolled: 1-line block ×4, first 2 shown]
	v_add_f64 v[76:77], v[70:71], v[76:77]
	v_add_f64 v[50:51], v[50:51], v[194:195]
	v_fma_f64 v[70:71], v[202:203], -0.5, v[70:71]
	v_add_f64 v[200:201], v[40:41], v[48:49]
	v_add_f64 v[40:41], v[40:41], -v[48:49]
	v_fma_f64 v[56:57], v[160:161], -0.5, v[56:57]
	v_add_f64 v[66:67], v[66:67], v[138:139]
	v_add_f64 v[106:107], v[28:29], v[134:135]
	;; [unrolled: 1-line block ×4, first 2 shown]
	v_fma_f64 v[36:37], v[213:214], -0.5, v[4:5]
	v_add_f64 v[114:115], v[46:47], v[64:65]
	v_fma_f64 v[134:135], v[74:75], s[4:5], v[62:63]
	v_fma_f64 v[138:139], v[78:79], s[0:1], v[24:25]
	;; [unrolled: 1-line block ×4, first 2 shown]
	v_fma_f64 v[62:63], v[221:222], -0.5, v[30:31]
	v_fma_f64 v[78:79], v[18:19], -0.5, v[2:3]
	;; [unrolled: 1-line block ×3, first 2 shown]
	v_fma_f64 v[16:17], v[68:69], s[0:1], v[12:13]
	v_fma_f64 v[64:65], v[68:69], s[4:5], v[12:13]
	v_add_f64 v[2:3], v[26:27], -v[58:59]
	v_fma_f64 v[68:69], v[148:149], s[4:5], v[10:11]
	v_fma_f64 v[148:149], v[148:149], s[0:1], v[10:11]
	v_add_f64 v[6:7], v[26:27], v[58:59]
	v_fma_f64 v[10:11], v[154:155], s[4:5], v[90:91]
	v_fma_f64 v[12:13], v[156:157], s[0:1], v[82:83]
	v_add_f64 v[26:27], v[96:97], -v[60:61]
	v_add_f64 v[30:31], v[96:97], v[60:61]
	v_fma_f64 v[60:61], v[190:191], s[0:1], v[20:21]
	v_fma_f64 v[20:21], v[190:191], s[4:5], v[20:21]
	v_fma_f64 v[22:23], v[227:228], -0.5, v[22:23]
	v_add_f64 v[0:1], v[86:87], -v[88:89]
	v_add_f64 v[4:5], v[86:87], v[88:89]
	v_fma_f64 v[86:87], v[164:165], s[4:5], v[92:93]
	v_fma_f64 v[88:89], v[166:167], s[0:1], v[94:95]
	;; [unrolled: 1-line block ×4, first 2 shown]
	v_add_f64 v[24:25], v[102:103], -v[100:101]
	v_add_f64 v[28:29], v[102:103], v[100:101]
	v_fma_f64 v[96:97], v[182:183], s[0:1], v[104:105]
	v_fma_f64 v[100:101], v[182:183], s[4:5], v[104:105]
	;; [unrolled: 1-line block ×5, first 2 shown]
	v_fma_f64 v[146:147], v[14:15], -0.5, v[52:53]
	v_fma_f64 v[14:15], v[156:157], s[4:5], v[82:83]
	v_fma_f64 v[18:19], v[154:155], s[0:1], v[90:91]
	;; [unrolled: 1-line block ×5, first 2 shown]
	v_fma_f64 v[46:47], v[215:216], -0.5, v[54:55]
	v_fma_f64 v[72:73], v[188:189], s[0:1], v[72:73]
	v_add_f64 v[54:55], v[50:51], -v[34:35]
	v_add_f64 v[58:59], v[50:51], v[34:35]
	v_fma_f64 v[34:35], v[204:205], s[4:5], v[70:71]
	v_fma_f64 v[42:43], v[206:207], s[4:5], v[44:45]
	;; [unrolled: 1-line block ×3, first 2 shown]
	v_add_f64 v[116:117], v[76:77], v[80:81]
	v_fma_f64 v[82:83], v[158:159], s[0:1], v[56:57]
	v_fma_f64 v[90:91], v[158:159], s[4:5], v[56:57]
	v_add_f64 v[76:77], v[48:49], -v[32:33]
	v_fma_f64 v[156:157], v[40:41], s[4:5], v[36:37]
	v_fma_f64 v[158:159], v[40:41], s[0:1], v[36:37]
	v_add_f64 v[80:81], v[48:49], v[32:33]
	v_mul_f64 v[32:33], v[12:13], -0.5
	v_mul_f64 v[40:41], v[10:11], -0.5
	v_mul_f64 v[178:179], v[20:21], s[0:1]
	v_fma_f64 v[112:113], v[200:201], -0.5, v[217:218]
	v_add_f64 v[52:53], v[66:67], -v[106:107]
	v_add_f64 v[56:57], v[66:67], v[106:107]
	v_fma_f64 v[162:163], v[225:226], s[0:1], v[22:23]
	v_fma_f64 v[164:165], v[223:224], s[0:1], v[62:63]
	;; [unrolled: 1-line block ×3, first 2 shown]
	v_mul_f64 v[62:63], v[88:89], -0.5
	v_mul_f64 v[66:67], v[92:93], s[4:5]
	v_mul_f64 v[70:71], v[86:87], -0.5
	v_mul_f64 v[170:171], v[94:95], s[0:1]
	v_mul_f64 v[172:173], v[60:61], -0.5
	v_mul_f64 v[182:183], v[38:39], -0.5
	v_mul_f64 v[36:37], v[18:19], s[4:5]
	v_mul_f64 v[48:49], v[14:15], s[0:1]
	v_mul_f64 v[176:177], v[8:9], -0.5
	v_mul_f64 v[174:175], v[72:73], s[4:5]
	v_mul_f64 v[184:185], v[44:45], s[4:5]
	v_mul_f64 v[186:187], v[34:35], -0.5
	v_mul_f64 v[188:189], v[42:43], s[0:1]
	v_fma_f64 v[32:33], v[10:11], s[4:5], v[32:33]
	v_fma_f64 v[40:41], v[12:13], s[0:1], v[40:41]
	v_fma_f64 v[72:73], v[72:73], 0.5, v[178:179]
	v_fma_f64 v[22:23], v[225:226], s[4:5], v[22:23]
	v_fma_f64 v[106:107], v[198:199], s[0:1], v[112:113]
	;; [unrolled: 1-line block ×3, first 2 shown]
	v_mul_f64 v[190:191], v[162:163], -0.5
	v_fma_f64 v[196:197], v[84:85], s[4:5], v[46:47]
	v_mul_f64 v[192:193], v[164:165], s[4:5]
	v_fma_f64 v[46:47], v[86:87], s[4:5], v[62:63]
	v_fma_f64 v[62:63], v[94:95], 0.5, v[66:67]
	v_fma_f64 v[66:67], v[88:89], s[0:1], v[70:71]
	v_fma_f64 v[70:71], v[92:93], 0.5, v[170:171]
	v_fma_f64 v[84:85], v[8:9], s[4:5], v[172:173]
	v_fma_f64 v[92:93], v[34:35], s[4:5], v[182:183]
	v_fma_f64 v[36:37], v[14:15], 0.5, v[36:37]
	v_fma_f64 v[48:49], v[18:19], 0.5, v[48:49]
	v_fma_f64 v[88:89], v[60:61], s[0:1], v[176:177]
	v_fma_f64 v[112:113], v[198:199], s[4:5], v[112:113]
	v_mul_f64 v[160:161], v[138:139], -0.5
	v_fma_f64 v[86:87], v[20:21], 0.5, v[174:175]
	v_fma_f64 v[94:95], v[42:43], 0.5, v[184:185]
	v_fma_f64 v[170:171], v[38:39], s[0:1], v[186:187]
	v_fma_f64 v[172:173], v[44:45], 0.5, v[188:189]
	v_mul_f64 v[166:167], v[144:145], s[4:5]
	v_mul_f64 v[168:169], v[134:135], -0.5
	v_mul_f64 v[198:199], v[50:51], -0.5
	v_add_f64 v[10:11], v[16:17], -v[32:33]
	v_add_f64 v[8:9], v[68:69], -v[40:41]
	v_add_f64 v[18:19], v[16:17], v[32:33]
	v_add_f64 v[16:17], v[68:69], v[40:41]
	v_add_f64 v[60:61], v[104:105], -v[72:73]
	v_add_f64 v[68:69], v[104:105], v[72:73]
	v_add_f64 v[72:73], v[126:127], v[122:123]
	v_mul_f64 v[200:201], v[22:23], s[0:1]
	v_fma_f64 v[174:175], v[50:51], s[4:5], v[190:191]
	v_add_f64 v[32:33], v[152:153], -v[66:67]
	v_add_f64 v[40:41], v[152:153], v[66:67]
	v_add_f64 v[50:51], v[96:97], -v[84:85]
	v_add_f64 v[66:67], v[96:97], v[84:85]
	;; [unrolled: 2-line block ×3, first 2 shown]
	v_add_f64 v[106:107], v[136:137], v[233:234]
	v_add_f64 v[126:127], v[235:236], v[98:99]
	v_fma_f64 v[176:177], v[22:23], 0.5, v[192:193]
	v_add_f64 v[14:15], v[64:65], -v[36:37]
	v_add_f64 v[12:13], v[148:149], -v[48:49]
	v_add_f64 v[22:23], v[64:65], v[36:37]
	v_add_f64 v[20:21], v[148:149], v[48:49]
	v_add_f64 v[48:49], v[102:103], -v[88:89]
	v_add_f64 v[64:65], v[102:103], v[88:89]
	v_mul_f64 v[102:103], v[142:143], s[0:1]
	v_add_f64 v[34:35], v[82:83], -v[46:47]
	v_add_f64 v[38:39], v[90:91], -v[62:63]
	;; [unrolled: 1-line block ×3, first 2 shown]
	v_add_f64 v[42:43], v[82:83], v[46:47]
	v_add_f64 v[46:47], v[90:91], v[62:63]
	;; [unrolled: 1-line block ×3, first 2 shown]
	v_add_f64 v[62:63], v[100:101], -v[86:87]
	v_add_f64 v[70:71], v[100:101], v[86:87]
	v_add_f64 v[88:89], v[112:113], -v[94:95]
	v_add_f64 v[82:83], v[156:157], -v[170:171]
	;; [unrolled: 1-line block ×3, first 2 shown]
	v_add_f64 v[96:97], v[112:113], v[94:95]
	v_add_f64 v[90:91], v[156:157], v[170:171]
	;; [unrolled: 1-line block ×3, first 2 shown]
	v_fma_f64 v[156:157], v[243:244], s[0:1], v[146:147]
	v_fma_f64 v[158:159], v[134:135], s[4:5], v[160:161]
	;; [unrolled: 1-line block ×4, first 2 shown]
	v_fma_f64 v[160:161], v[142:143], 0.5, v[166:167]
	v_fma_f64 v[166:167], v[138:139], s[0:1], v[168:169]
	v_add_f64 v[168:169], v[249:250], v[118:119]
	v_add_f64 v[72:73], v[72:73], v[124:125]
	v_fma_f64 v[152:153], v[237:238], s[0:1], v[78:79]
	v_fma_f64 v[154:155], v[164:165], 0.5, v[200:201]
	v_add_f64 v[74:75], v[114:115], -v[116:117]
	v_add_f64 v[78:79], v[114:115], v[116:117]
	v_add_f64 v[114:115], v[106:107], -v[126:127]
	v_add_f64 v[126:127], v[106:107], v[126:127]
	v_mul_hi_u32 v106, 0x16c16c17, v108
	v_add_f64 v[162:163], v[120:121], v[245:246]
	v_add_f64 v[132:133], v[132:133], v[130:131]
	v_fma_f64 v[146:147], v[243:244], s[4:5], v[146:147]
	v_fma_f64 v[170:171], v[247:248], s[0:1], v[150:151]
	v_fma_f64 v[172:173], v[144:145], 0.5, v[102:103]
	v_add_f64 v[128:129], v[239:240], v[128:129]
	v_add_f64 v[140:141], v[241:242], v[140:141]
	v_fma_f64 v[164:165], v[247:248], s[4:5], v[150:151]
	v_lshrrev_b32_e32 v106, 2, v106
	v_add_f64 v[130:131], v[156:157], -v[158:159]
	v_add_f64 v[142:143], v[156:157], v[158:159]
	v_add_nc_u32_e32 v156, 60, v212
	v_add_f64 v[98:99], v[136:137], -v[148:149]
	v_mul_u32_u24_e32 v108, 0x168, v106
	v_lshlrev_b64 v[106:107], 4, v[110:111]
	v_add_f64 v[116:117], v[136:137], v[148:149]
	v_lshrrev_b32_e32 v110, 3, v156
	v_add_f64 v[136:137], v[168:169], -v[72:73]
	v_add_f64 v[148:149], v[168:169], v[72:73]
	v_lshlrev_b64 v[72:73], 4, v[180:181]
	v_sub_nc_u32_e32 v108, v212, v108
	v_add_co_u32 v106, vcc_lo, s10, v106
	v_add_f64 v[102:103], v[152:153], -v[154:155]
	v_add_f64 v[120:121], v[152:153], v[154:155]
	v_mul_hi_u32 v152, 0x16c16c17, v110
	v_add_co_ci_u32_e32 v107, vcc_lo, s11, v107, vcc_lo
	v_lshlrev_b32_e32 v108, 4, v108
	v_add_co_u32 v72, vcc_lo, v106, v72
	v_add_f64 v[150:151], v[162:163], v[132:133]
	v_add_f64 v[134:135], v[146:147], -v[160:161]
	v_add_f64 v[146:147], v[146:147], v[160:161]
	v_add_f64 v[144:145], v[170:171], v[172:173]
	v_add_co_ci_u32_e32 v73, vcc_lo, v107, v73, vcc_lo
	v_add_f64 v[112:113], v[128:129], -v[140:141]
	v_add_f64 v[124:125], v[128:129], v[140:141]
	v_add_f64 v[140:141], v[164:165], v[166:167]
	v_add_co_u32 v106, vcc_lo, v72, v108
	v_lshrrev_b32_e32 v108, 2, v152
	v_add_f64 v[138:139], v[162:163], -v[132:133]
	v_add_co_ci_u32_e32 v107, vcc_lo, 0, v73, vcc_lo
	v_add_f64 v[132:133], v[170:171], -v[172:173]
	v_mul_u32_u24_e32 v157, 0x168, v108
	v_add_f64 v[128:129], v[164:165], -v[166:167]
	v_add_co_u32 v110, vcc_lo, 0x1000, v106
	v_add_co_ci_u32_e32 v111, vcc_lo, 0, v107, vcc_lo
	v_sub_nc_u32_e32 v156, v156, v157
	v_add_co_u32 v152, vcc_lo, 0x2800, v106
	v_add_co_ci_u32_e32 v153, vcc_lo, 0, v107, vcc_lo
	v_mad_u32_u24 v108, 0x870, v108, v156
	v_add_co_u32 v154, vcc_lo, 0x4000, v106
	v_add_co_ci_u32_e32 v155, vcc_lo, 0, v107, vcc_lo
	global_store_dwordx4 v[106:107], v[148:151], off
	global_store_dwordx4 v[110:111], v[144:147], off offset:1664
	global_store_dwordx4 v[152:153], v[140:143], off offset:1280
	global_store_dwordx4 v[154:155], v[136:139], off offset:896
	v_add_co_u32 v110, vcc_lo, 0x5800, v106
	v_lshlrev_b64 v[136:137], 4, v[108:109]
	v_add_co_ci_u32_e32 v111, vcc_lo, 0, v107, vcc_lo
	v_add_co_u32 v106, vcc_lo, 0x7000, v106
	v_add_co_ci_u32_e32 v107, vcc_lo, 0, v107, vcc_lo
	v_add_co_u32 v136, vcc_lo, v72, v136
	v_add_nc_u32_e32 v140, 0x78, v212
	v_add_co_ci_u32_e32 v137, vcc_lo, v73, v137, vcc_lo
	global_store_dwordx4 v[110:111], v[132:135], off offset:512
	global_store_dwordx4 v[106:107], v[128:131], off offset:128
	global_store_dwordx4 v[136:137], v[124:127], off
	v_lshrrev_b32_e32 v126, 3, v140
	v_add_nc_u32_e32 v138, 0x168, v108
	v_mov_b32_e32 v139, v109
	v_add_f64 v[122:123], v[196:197], v[176:177]
	v_add_f64 v[118:119], v[194:195], v[174:175]
	v_mul_hi_u32 v128, 0x16c16c17, v126
	v_add_nc_u32_e32 v110, 0x2d0, v108
	v_mov_b32_e32 v111, v109
	v_add_f64 v[104:105], v[196:197], -v[176:177]
	v_lshlrev_b64 v[106:107], 4, v[138:139]
	v_add_nc_u32_e32 v124, 0x438, v108
	v_mov_b32_e32 v125, v109
	v_lshlrev_b64 v[110:111], 4, v[110:111]
	v_lshrrev_b32_e32 v130, 2, v128
	v_add_nc_u32_e32 v126, 0x5a0, v108
	v_mov_b32_e32 v127, v109
	v_add_co_u32 v106, vcc_lo, v72, v106
	v_mul_u32_u24_e32 v128, 0x168, v130
	v_lshlrev_b64 v[124:125], 4, v[124:125]
	v_add_co_ci_u32_e32 v107, vcc_lo, v73, v107, vcc_lo
	v_add_co_u32 v110, vcc_lo, v72, v110
	v_lshlrev_b64 v[126:127], 4, v[126:127]
	v_add_nc_u32_e32 v108, 0x708, v108
	v_sub_nc_u32_e32 v131, v140, v128
	v_add_co_ci_u32_e32 v111, vcc_lo, v73, v111, vcc_lo
	v_add_co_u32 v124, vcc_lo, v72, v124
	v_add_co_ci_u32_e32 v125, vcc_lo, v73, v125, vcc_lo
	v_add_f64 v[100:101], v[194:195], -v[174:175]
	v_add_co_u32 v126, vcc_lo, v72, v126
	v_lshlrev_b64 v[128:129], 4, v[108:109]
	v_mad_u32_u24 v108, 0x870, v130, v131
	v_add_co_ci_u32_e32 v127, vcc_lo, v73, v127, vcc_lo
	global_store_dwordx4 v[106:107], v[120:123], off
	global_store_dwordx4 v[110:111], v[116:119], off
	global_store_dwordx4 v[124:125], v[112:115], off
	global_store_dwordx4 v[126:127], v[102:105], off
	v_add_nc_u32_e32 v114, 0xb4, v212
	v_add_nc_u32_e32 v104, 0x168, v108
	v_mov_b32_e32 v105, v109
	v_lshlrev_b64 v[102:103], 4, v[108:109]
	v_add_co_u32 v106, vcc_lo, v72, v128
	v_lshrrev_b32_e32 v112, 3, v114
	v_lshlrev_b64 v[104:105], 4, v[104:105]
	v_add_co_ci_u32_e32 v107, vcc_lo, v73, v129, vcc_lo
	v_add_co_u32 v102, vcc_lo, v72, v102
	v_mul_hi_u32 v115, 0x16c16c17, v112
	v_add_co_ci_u32_e32 v103, vcc_lo, v73, v103, vcc_lo
	v_add_co_u32 v104, vcc_lo, v72, v104
	v_add_nc_u32_e32 v110, 0x2d0, v108
	v_mov_b32_e32 v111, v109
	v_add_co_ci_u32_e32 v105, vcc_lo, v73, v105, vcc_lo
	v_add_nc_u32_e32 v112, 0x438, v108
	v_mov_b32_e32 v113, v109
	global_store_dwordx4 v[106:107], v[98:101], off
	v_lshlrev_b64 v[98:99], 4, v[110:111]
	global_store_dwordx4 v[102:103], v[78:81], off
	global_store_dwordx4 v[104:105], v[94:97], off
	v_lshrrev_b32_e32 v96, 2, v115
	v_lshlrev_b64 v[78:79], 4, v[112:113]
	v_add_nc_u32_e32 v94, 0x5a0, v108
	v_mov_b32_e32 v95, v109
	v_add_co_u32 v80, vcc_lo, v72, v98
	v_mul_u32_u24_e32 v97, 0x168, v96
	v_add_co_ci_u32_e32 v81, vcc_lo, v73, v99, vcc_lo
	v_add_co_u32 v78, vcc_lo, v72, v78
	v_add_nc_u32_e32 v108, 0x708, v108
	v_sub_nc_u32_e32 v97, v114, v97
	v_add_co_ci_u32_e32 v79, vcc_lo, v73, v79, vcc_lo
	v_lshlrev_b64 v[94:95], 4, v[94:95]
	global_store_dwordx4 v[80:81], v[90:93], off
	global_store_dwordx4 v[78:79], v[74:77], off
	v_lshlrev_b64 v[74:75], 4, v[108:109]
	v_mad_u32_u24 v108, 0x870, v96, v97
	v_add_nc_u32_e32 v90, 0xf0, v212
	v_add_co_u32 v76, vcc_lo, v72, v94
	v_add_co_ci_u32_e32 v77, vcc_lo, v73, v95, vcc_lo
	v_lshlrev_b64 v[78:79], 4, v[108:109]
	v_add_co_u32 v74, vcc_lo, v72, v74
	v_add_co_ci_u32_e32 v75, vcc_lo, v73, v75, vcc_lo
	v_add_nc_u32_e32 v80, 0x168, v108
	v_add_co_u32 v78, vcc_lo, v72, v78
	v_add_co_ci_u32_e32 v79, vcc_lo, v73, v79, vcc_lo
	global_store_dwordx4 v[76:77], v[86:89], off
	global_store_dwordx4 v[74:75], v[82:85], off
	;; [unrolled: 1-line block ×3, first 2 shown]
	v_lshrrev_b32_e32 v76, 3, v90
	v_mov_b32_e32 v81, v109
	v_add_nc_u32_e32 v58, 0x2d0, v108
	v_mov_b32_e32 v59, v109
	v_add_nc_u32_e32 v74, 0x438, v108
	v_mul_hi_u32 v78, 0x16c16c17, v76
	v_lshlrev_b64 v[56:57], 4, v[80:81]
	v_mov_b32_e32 v75, v109
	v_lshlrev_b64 v[58:59], 4, v[58:59]
	v_add_nc_u32_e32 v76, 0x5a0, v108
	v_mov_b32_e32 v77, v109
	v_add_nc_u32_e32 v108, 0x708, v108
	v_add_co_u32 v56, vcc_lo, v72, v56
	v_lshrrev_b32_e32 v80, 2, v78
	v_lshlrev_b64 v[74:75], 4, v[74:75]
	v_add_co_ci_u32_e32 v57, vcc_lo, v73, v57, vcc_lo
	v_add_co_u32 v58, vcc_lo, v72, v58
	v_mul_u32_u24_e32 v78, 0x168, v80
	v_lshlrev_b64 v[76:77], 4, v[76:77]
	v_add_co_ci_u32_e32 v59, vcc_lo, v73, v59, vcc_lo
	v_add_co_u32 v74, vcc_lo, v72, v74
	v_sub_nc_u32_e32 v81, v90, v78
	v_add_co_ci_u32_e32 v75, vcc_lo, v73, v75, vcc_lo
	v_add_co_u32 v76, vcc_lo, v72, v76
	v_lshlrev_b64 v[78:79], 4, v[108:109]
	v_mad_u32_u24 v108, 0x870, v80, v81
	v_add_co_ci_u32_e32 v77, vcc_lo, v73, v77, vcc_lo
	global_store_dwordx4 v[56:57], v[68:71], off
	global_store_dwordx4 v[58:59], v[64:67], off
	;; [unrolled: 1-line block ×4, first 2 shown]
	v_add_nc_u32_e32 v62, 0x12c, v212
	v_add_nc_u32_e32 v54, 0x168, v108
	v_mov_b32_e32 v55, v109
	v_lshlrev_b64 v[52:53], 4, v[108:109]
	v_add_co_u32 v56, vcc_lo, v72, v78
	v_lshrrev_b32_e32 v60, 3, v62
	v_lshlrev_b64 v[54:55], 4, v[54:55]
	v_add_co_ci_u32_e32 v57, vcc_lo, v73, v79, vcc_lo
	v_add_co_u32 v52, vcc_lo, v72, v52
	v_mul_hi_u32 v63, 0x16c16c17, v60
	v_add_co_ci_u32_e32 v53, vcc_lo, v73, v53, vcc_lo
	v_add_co_u32 v54, vcc_lo, v72, v54
	v_add_nc_u32_e32 v58, 0x2d0, v108
	v_mov_b32_e32 v59, v109
	v_add_co_ci_u32_e32 v55, vcc_lo, v73, v55, vcc_lo
	v_add_nc_u32_e32 v60, 0x438, v108
	v_mov_b32_e32 v61, v109
	global_store_dwordx4 v[56:57], v[48:51], off
	v_lshlrev_b64 v[48:49], 4, v[58:59]
	global_store_dwordx4 v[52:53], v[28:31], off
	global_store_dwordx4 v[54:55], v[44:47], off
	v_lshrrev_b32_e32 v46, 2, v63
	v_lshlrev_b64 v[28:29], 4, v[60:61]
	v_add_nc_u32_e32 v44, 0x5a0, v108
	v_mov_b32_e32 v45, v109
	v_add_co_u32 v30, vcc_lo, v72, v48
	v_mul_u32_u24_e32 v47, 0x168, v46
	v_add_co_ci_u32_e32 v31, vcc_lo, v73, v49, vcc_lo
	v_add_co_u32 v28, vcc_lo, v72, v28
	v_add_nc_u32_e32 v108, 0x708, v108
	v_sub_nc_u32_e32 v47, v62, v47
	v_add_co_ci_u32_e32 v29, vcc_lo, v73, v29, vcc_lo
	v_lshlrev_b64 v[44:45], 4, v[44:45]
	global_store_dwordx4 v[30:31], v[40:43], off
	global_store_dwordx4 v[28:29], v[24:27], off
	v_lshlrev_b64 v[24:25], 4, v[108:109]
	v_mad_u32_u24 v108, 0x870, v46, v47
	v_mov_b32_e32 v31, v109
	v_add_co_u32 v26, vcc_lo, v72, v44
	v_add_co_ci_u32_e32 v27, vcc_lo, v73, v45, vcc_lo
	v_lshlrev_b64 v[28:29], 4, v[108:109]
	v_add_co_u32 v24, vcc_lo, v72, v24
	v_add_co_ci_u32_e32 v25, vcc_lo, v73, v25, vcc_lo
	v_add_nc_u32_e32 v30, 0x168, v108
	v_add_co_u32 v28, vcc_lo, v72, v28
	v_add_co_ci_u32_e32 v29, vcc_lo, v73, v29, vcc_lo
	v_add_nc_u32_e32 v40, 0x2d0, v108
	v_mov_b32_e32 v41, v109
	global_store_dwordx4 v[26:27], v[36:39], off
	global_store_dwordx4 v[24:25], v[32:35], off
	v_lshlrev_b64 v[24:25], 4, v[30:31]
	global_store_dwordx4 v[28:29], v[4:7], off
	v_add_nc_u32_e32 v6, 0x438, v108
	v_mov_b32_e32 v7, v109
	v_lshlrev_b64 v[4:5], 4, v[40:41]
	v_add_nc_u32_e32 v26, 0x5a0, v108
	v_mov_b32_e32 v27, v109
	v_add_co_u32 v24, vcc_lo, v72, v24
	v_lshlrev_b64 v[6:7], 4, v[6:7]
	v_add_nc_u32_e32 v108, 0x708, v108
	v_add_co_ci_u32_e32 v25, vcc_lo, v73, v25, vcc_lo
	v_add_co_u32 v4, vcc_lo, v72, v4
	v_lshlrev_b64 v[26:27], 4, v[26:27]
	v_add_co_ci_u32_e32 v5, vcc_lo, v73, v5, vcc_lo
	v_add_co_u32 v6, vcc_lo, v72, v6
	v_lshlrev_b64 v[28:29], 4, v[108:109]
	v_add_co_ci_u32_e32 v7, vcc_lo, v73, v7, vcc_lo
	v_add_co_u32 v26, vcc_lo, v72, v26
	v_add_co_ci_u32_e32 v27, vcc_lo, v73, v27, vcc_lo
	v_add_co_u32 v28, vcc_lo, v72, v28
	v_add_co_ci_u32_e32 v29, vcc_lo, v73, v29, vcc_lo
	global_store_dwordx4 v[24:25], v[20:23], off
	global_store_dwordx4 v[4:5], v[16:19], off
	global_store_dwordx4 v[6:7], v[0:3], off
	global_store_dwordx4 v[26:27], v[12:15], off
	global_store_dwordx4 v[28:29], v[8:11], off
.LBB0_21:
	s_endpgm
	.section	.rodata,"a",@progbits
	.p2align	6, 0x0
	.amdhsa_kernel fft_rtc_fwd_len2160_factors_10_6_6_6_wgs_60_tpt_60_halfLds_dp_op_CI_CI_unitstride_sbrr_dirReg
		.amdhsa_group_segment_fixed_size 0
		.amdhsa_private_segment_fixed_size 12
		.amdhsa_kernarg_size 104
		.amdhsa_user_sgpr_count 6
		.amdhsa_user_sgpr_private_segment_buffer 1
		.amdhsa_user_sgpr_dispatch_ptr 0
		.amdhsa_user_sgpr_queue_ptr 0
		.amdhsa_user_sgpr_kernarg_segment_ptr 1
		.amdhsa_user_sgpr_dispatch_id 0
		.amdhsa_user_sgpr_flat_scratch_init 0
		.amdhsa_user_sgpr_private_segment_size 0
		.amdhsa_wavefront_size32 1
		.amdhsa_uses_dynamic_stack 0
		.amdhsa_system_sgpr_private_segment_wavefront_offset 1
		.amdhsa_system_sgpr_workgroup_id_x 1
		.amdhsa_system_sgpr_workgroup_id_y 0
		.amdhsa_system_sgpr_workgroup_id_z 0
		.amdhsa_system_sgpr_workgroup_info 0
		.amdhsa_system_vgpr_workitem_id 0
		.amdhsa_next_free_vgpr 256
		.amdhsa_next_free_sgpr 32
		.amdhsa_reserve_vcc 1
		.amdhsa_reserve_flat_scratch 0
		.amdhsa_float_round_mode_32 0
		.amdhsa_float_round_mode_16_64 0
		.amdhsa_float_denorm_mode_32 3
		.amdhsa_float_denorm_mode_16_64 3
		.amdhsa_dx10_clamp 1
		.amdhsa_ieee_mode 1
		.amdhsa_fp16_overflow 0
		.amdhsa_workgroup_processor_mode 1
		.amdhsa_memory_ordered 1
		.amdhsa_forward_progress 0
		.amdhsa_shared_vgpr_count 0
		.amdhsa_exception_fp_ieee_invalid_op 0
		.amdhsa_exception_fp_denorm_src 0
		.amdhsa_exception_fp_ieee_div_zero 0
		.amdhsa_exception_fp_ieee_overflow 0
		.amdhsa_exception_fp_ieee_underflow 0
		.amdhsa_exception_fp_ieee_inexact 0
		.amdhsa_exception_int_div_zero 0
	.end_amdhsa_kernel
	.text
.Lfunc_end0:
	.size	fft_rtc_fwd_len2160_factors_10_6_6_6_wgs_60_tpt_60_halfLds_dp_op_CI_CI_unitstride_sbrr_dirReg, .Lfunc_end0-fft_rtc_fwd_len2160_factors_10_6_6_6_wgs_60_tpt_60_halfLds_dp_op_CI_CI_unitstride_sbrr_dirReg
                                        ; -- End function
	.section	.AMDGPU.csdata,"",@progbits
; Kernel info:
; codeLenInByte = 22960
; NumSgprs: 34
; NumVgprs: 256
; ScratchSize: 12
; MemoryBound: 1
; FloatMode: 240
; IeeeMode: 1
; LDSByteSize: 0 bytes/workgroup (compile time only)
; SGPRBlocks: 4
; VGPRBlocks: 31
; NumSGPRsForWavesPerEU: 34
; NumVGPRsForWavesPerEU: 256
; Occupancy: 4
; WaveLimiterHint : 1
; COMPUTE_PGM_RSRC2:SCRATCH_EN: 1
; COMPUTE_PGM_RSRC2:USER_SGPR: 6
; COMPUTE_PGM_RSRC2:TRAP_HANDLER: 0
; COMPUTE_PGM_RSRC2:TGID_X_EN: 1
; COMPUTE_PGM_RSRC2:TGID_Y_EN: 0
; COMPUTE_PGM_RSRC2:TGID_Z_EN: 0
; COMPUTE_PGM_RSRC2:TIDIG_COMP_CNT: 0
	.text
	.p2alignl 6, 3214868480
	.fill 48, 4, 3214868480
	.type	__hip_cuid_9de0873058f9752e,@object ; @__hip_cuid_9de0873058f9752e
	.section	.bss,"aw",@nobits
	.globl	__hip_cuid_9de0873058f9752e
__hip_cuid_9de0873058f9752e:
	.byte	0                               ; 0x0
	.size	__hip_cuid_9de0873058f9752e, 1

	.ident	"AMD clang version 19.0.0git (https://github.com/RadeonOpenCompute/llvm-project roc-6.4.0 25133 c7fe45cf4b819c5991fe208aaa96edf142730f1d)"
	.section	".note.GNU-stack","",@progbits
	.addrsig
	.addrsig_sym __hip_cuid_9de0873058f9752e
	.amdgpu_metadata
---
amdhsa.kernels:
  - .args:
      - .actual_access:  read_only
        .address_space:  global
        .offset:         0
        .size:           8
        .value_kind:     global_buffer
      - .offset:         8
        .size:           8
        .value_kind:     by_value
      - .actual_access:  read_only
        .address_space:  global
        .offset:         16
        .size:           8
        .value_kind:     global_buffer
      - .actual_access:  read_only
        .address_space:  global
        .offset:         24
        .size:           8
        .value_kind:     global_buffer
      - .actual_access:  read_only
        .address_space:  global
        .offset:         32
        .size:           8
        .value_kind:     global_buffer
      - .offset:         40
        .size:           8
        .value_kind:     by_value
      - .actual_access:  read_only
        .address_space:  global
        .offset:         48
        .size:           8
        .value_kind:     global_buffer
      - .actual_access:  read_only
        .address_space:  global
        .offset:         56
        .size:           8
        .value_kind:     global_buffer
      - .offset:         64
        .size:           4
        .value_kind:     by_value
      - .actual_access:  read_only
        .address_space:  global
        .offset:         72
        .size:           8
        .value_kind:     global_buffer
      - .actual_access:  read_only
        .address_space:  global
        .offset:         80
        .size:           8
        .value_kind:     global_buffer
      - .actual_access:  read_only
        .address_space:  global
        .offset:         88
        .size:           8
        .value_kind:     global_buffer
      - .actual_access:  write_only
        .address_space:  global
        .offset:         96
        .size:           8
        .value_kind:     global_buffer
    .group_segment_fixed_size: 0
    .kernarg_segment_align: 8
    .kernarg_segment_size: 104
    .language:       OpenCL C
    .language_version:
      - 2
      - 0
    .max_flat_workgroup_size: 60
    .name:           fft_rtc_fwd_len2160_factors_10_6_6_6_wgs_60_tpt_60_halfLds_dp_op_CI_CI_unitstride_sbrr_dirReg
    .private_segment_fixed_size: 12
    .sgpr_count:     34
    .sgpr_spill_count: 0
    .symbol:         fft_rtc_fwd_len2160_factors_10_6_6_6_wgs_60_tpt_60_halfLds_dp_op_CI_CI_unitstride_sbrr_dirReg.kd
    .uniform_work_group_size: 1
    .uses_dynamic_stack: false
    .vgpr_count:     256
    .vgpr_spill_count: 2
    .wavefront_size: 32
    .workgroup_processor_mode: 1
amdhsa.target:   amdgcn-amd-amdhsa--gfx1030
amdhsa.version:
  - 1
  - 2
...

	.end_amdgpu_metadata
